;; amdgpu-corpus repo=zjin-lcf/HeCBench kind=compiled arch=gfx90a opt=O3
	.text
	.amdgcn_target "amdgcn-amd-amdhsa--gfx90a"
	.amdhsa_code_object_version 6
	.protected	_Z38modulated_deformable_im2col_gpu_kerneliPKfS0_S0_iiiiiiiiiiiiiiiiPf ; -- Begin function _Z38modulated_deformable_im2col_gpu_kerneliPKfS0_S0_iiiiiiiiiiiiiiiiPf
	.globl	_Z38modulated_deformable_im2col_gpu_kerneliPKfS0_S0_iiiiiiiiiiiiiiiiPf
	.p2align	8
	.type	_Z38modulated_deformable_im2col_gpu_kerneliPKfS0_S0_iiiiiiiiiiiiiiiiPf,@function
_Z38modulated_deformable_im2col_gpu_kerneliPKfS0_S0_iiiiiiiiiiiiiiiiPf: ; @_Z38modulated_deformable_im2col_gpu_kerneliPKfS0_S0_iiiiiiiiiiiiiiiiPf
; %bb.0:
	s_load_dword s2, s[4:5], 0x74
	s_load_dword s33, s[4:5], 0x0
	s_add_u32 s0, s4, 0x68
	s_addc_u32 s1, s5, 0
	s_waitcnt lgkmcnt(0)
	s_and_b32 s2, s2, 0xffff
	s_mul_i32 s6, s6, s2
	v_add_u32_e32 v9, s6, v0
	v_cmp_gt_i32_e32 vcc, s33, v9
	s_and_saveexec_b64 s[6:7], vcc
	s_cbranch_execz .LBB0_19
; %bb.1:
	s_load_dwordx16 s[8:23], s[4:5], 0x20
	s_load_dwordx4 s[24:27], s[4:5], 0x8
	s_load_dwordx2 s[28:29], s[4:5], 0x18
	s_load_dwordx2 s[30:31], s[4:5], 0x60
	s_load_dword s48, s[0:1], 0x0
	s_waitcnt lgkmcnt(0)
	s_mul_i32 s42, s11, s22
	s_mul_i32 s0, s42, s23
	;; [unrolled: 1-line block ×3, first 2 shown]
	s_lshl_b32 s44, s0, 1
	s_cmp_gt_i32 s10, 0
	s_cselect_b64 s[0:1], -1, 0
	s_cmp_gt_i32 s11, 0
	s_cselect_b64 s[34:35], -1, 0
	s_abs_i32 s46, s23
	v_cvt_f32_u32_e32 v0, s46
	s_abs_i32 s49, s22
	v_cvt_f32_u32_e32 v1, s49
	s_mul_i32 s48, s48, s2
	v_rcp_iflag_f32_e32 v0, v0
	s_sub_i32 s2, 0, s46
	v_rcp_iflag_f32_e32 v1, v1
	s_abs_i32 s51, s20
	v_mul_f32_e32 v0, 0x4f7ffffe, v0
	v_cvt_u32_f32_e32 v0, v0
	s_abs_i32 s53, s19
	s_abs_i32 s55, s18
	v_cvt_f32_u32_e32 v3, s55
	v_mul_lo_u32 v2, s2, v0
	v_mul_hi_u32 v2, v0, v2
	v_add_u32_e32 v12, v0, v2
	v_mul_f32_e32 v0, 0x4f7ffffe, v1
	v_cvt_f32_u32_e32 v1, s51
	v_cvt_u32_f32_e32 v0, v0
	s_sub_i32 s2, 0, s49
	v_cvt_f32_i32_e32 v10, s8
	v_rcp_iflag_f32_e32 v1, v1
	v_mul_lo_u32 v2, s2, v0
	v_mul_hi_u32 v2, v0, v2
	v_add_u32_e32 v13, v0, v2
	v_mul_f32_e32 v0, 0x4f7ffffe, v1
	v_cvt_u32_f32_e32 v0, v0
	v_cvt_f32_u32_e32 v1, s53
	s_sub_i32 s2, 0, s51
	v_cvt_f32_i32_e32 v11, s9
	v_mul_lo_u32 v2, s2, v0
	v_rcp_iflag_f32_e32 v1, v1
	v_mul_hi_u32 v2, v0, v2
	v_add_u32_e32 v14, v0, v2
	v_rcp_iflag_f32_e32 v0, v3
	v_mul_f32_e32 v1, 0x4f7ffffe, v1
	v_cvt_u32_f32_e32 v1, v1
	s_sub_i32 s2, 0, s53
	v_mul_f32_e32 v0, 0x4f7ffffe, v0
	v_cvt_u32_f32_e32 v0, v0
	v_mul_lo_u32 v2, s2, v1
	v_mul_hi_u32 v2, v1, v2
	s_sub_i32 s2, 0, s55
	s_mul_i32 s36, s23, s22
	v_add_u32_e32 v15, v1, v2
	v_mul_lo_u32 v1, s2, v0
	s_ashr_i32 s37, s36, 31
	v_mul_hi_u32 v1, v0, v1
	s_mul_i32 s42, s42, s10
	s_ashr_i32 s56, s18, 31
	v_add_u32_e32 v16, v0, v1
	s_lshl_b64 s[18:19], s[36:37], 2
	s_mul_i32 s37, s36, s11
	v_cndmask_b32_e64 v0, 0, 1, s[0:1]
	s_mul_i32 s43, s9, s8
	s_mul_i32 s45, s42, s23
	s_add_i32 s47, s9, -1
	s_add_i32 s8, s8, -1
	s_ashr_i32 s50, s23, 31
	s_ashr_i32 s52, s22, 31
	;; [unrolled: 1-line block ×3, first 2 shown]
	s_sub_i32 s13, 0, s13
	s_lshl_b32 s57, s37, 1
	s_lshl_b32 s58, s36, 1
	s_mov_b64 s[38:39], 0
	v_cmp_ne_u32_e64 s[0:1], 1, v0
	v_mov_b32_e32 v0, 1.0
	s_branch .LBB0_3
.LBB0_2:                                ;   in Loop: Header=BB0_3 Depth=1
	v_add_u32_e32 v9, s48, v9
	v_cmp_le_i32_e32 vcc, s33, v9
	s_or_b64 s[38:39], vcc, s[38:39]
	s_andn2_b64 exec, exec, s[38:39]
	s_cbranch_execz .LBB0_19
.LBB0_3:                                ; =>This Loop Header: Depth=1
                                        ;     Child Loop BB0_6 Depth 2
                                        ;       Child Loop BB0_10 Depth 3
	s_and_b64 vcc, exec, s[0:1]
	s_cbranch_vccnz .LBB0_2
; %bb.4:                                ;   in Loop: Header=BB0_3 Depth=1
	v_sub_u32_e32 v2, 0, v9
	v_max_i32_e32 v2, v9, v2
	v_mul_hi_u32 v3, v2, v12
	v_mul_lo_u32 v4, v3, s46
	v_sub_u32_e32 v2, v2, v4
	v_add_u32_e32 v4, 1, v3
	v_cmp_le_u32_e32 vcc, s46, v2
	v_cndmask_b32_e32 v3, v3, v4, vcc
	v_subrev_u32_e32 v4, s46, v2
	v_cndmask_b32_e32 v2, v2, v4, vcc
	v_ashrrev_i32_e32 v1, 31, v9
	v_add_u32_e32 v4, 1, v3
	v_cmp_le_u32_e32 vcc, s46, v2
	v_xor_b32_e32 v1, s50, v1
	v_cndmask_b32_e32 v2, v3, v4, vcc
	v_xor_b32_e32 v2, v2, v1
	v_sub_u32_e32 v1, v2, v1
	v_ashrrev_i32_e32 v3, 31, v1
	v_xor_b32_e32 v27, s52, v3
	v_sub_u32_e32 v3, 0, v1
	v_max_i32_e32 v3, v1, v3
	v_mul_hi_u32 v4, v3, v13
	v_mul_lo_u32 v5, v4, s49
	v_sub_u32_e32 v3, v3, v5
	v_add_u32_e32 v5, 1, v4
	v_cmp_le_u32_e32 vcc, s49, v3
	v_cndmask_b32_e32 v4, v4, v5, vcc
	v_subrev_u32_e32 v5, s49, v3
	v_cndmask_b32_e32 v3, v3, v5, vcc
	v_add_u32_e32 v5, 1, v4
	v_cmp_le_u32_e32 vcc, s49, v3
	v_cndmask_b32_e32 v3, v4, v5, vcc
	v_xor_b32_e32 v28, v3, v27
	v_sub_u32_e32 v29, v28, v27
	v_mul_lo_u32 v3, v29, s22
	v_sub_u32_e32 v4, v1, v3
	v_sub_u32_e32 v3, 0, v29
	v_max_i32_e32 v3, v29, v3
	v_mul_hi_u32 v5, v3, v14
	v_mul_lo_u32 v6, v5, s51
	v_sub_u32_e32 v3, v3, v6
	v_add_u32_e32 v6, 1, v5
	v_cmp_le_u32_e32 vcc, s51, v3
	v_cndmask_b32_e32 v5, v5, v6, vcc
	v_subrev_u32_e32 v6, s51, v3
	v_cndmask_b32_e32 v3, v3, v6, vcc
	v_mul_lo_u32 v2, v1, s23
	v_ashrrev_i32_e32 v1, 31, v29
	v_add_u32_e32 v6, 1, v5
	v_cmp_le_u32_e32 vcc, s51, v3
	v_xor_b32_e32 v1, s54, v1
	v_cndmask_b32_e32 v3, v5, v6, vcc
	v_xor_b32_e32 v3, v3, v1
	v_sub_u32_e32 v1, v3, v1
	v_sub_u32_e32 v5, 0, v1
	v_max_i32_e32 v5, v1, v5
	v_mul_hi_u32 v6, v5, v15
	v_mul_lo_u32 v6, v6, s53
	v_sub_u32_e32 v5, v5, v6
	v_subrev_u32_e32 v6, s53, v5
	v_cmp_le_u32_e32 vcc, s53, v5
	v_cndmask_b32_e32 v5, v5, v6, vcc
	v_subrev_u32_e32 v6, s53, v5
	v_cmp_le_u32_e32 vcc, s53, v5
	v_ashrrev_i32_e32 v3, 31, v1
	v_cndmask_b32_e32 v5, v5, v6, vcc
	v_mul_lo_u32 v1, v1, s20
	v_xor_b32_e32 v5, v5, v3
	v_sub_u32_e32 v6, v29, v1
	v_sub_u32_e32 v3, v5, v3
	;; [unrolled: 1-line block ×3, first 2 shown]
	v_max_i32_e32 v5, v6, v5
	v_mul_hi_u32 v7, v5, v16
	v_mul_lo_u32 v8, v7, s55
	v_sub_u32_e32 v5, v5, v8
	v_add_u32_e32 v8, 1, v7
	v_cmp_le_u32_e32 vcc, s55, v5
	v_cndmask_b32_e32 v7, v7, v8, vcc
	v_subrev_u32_e32 v8, s55, v5
	v_cndmask_b32_e32 v5, v5, v8, vcc
	v_ashrrev_i32_e32 v1, 31, v6
	v_add_u32_e32 v8, 1, v7
	v_cmp_le_u32_e32 vcc, s55, v5
	v_xor_b32_e32 v1, s56, v1
	v_cndmask_b32_e32 v5, v7, v8, vcc
	v_xor_b32_e32 v5, v5, v1
	v_mad_u64_u32 v[6:7], s[2:3], v3, s20, v[6:7]
	v_sub_u32_e32 v8, v5, v1
	v_mul_lo_u32 v18, s43, v6
	v_ashrrev_i32_e32 v19, 31, v18
	v_mad_u64_u32 v[22:23], s[2:3], v3, s21, v[8:9]
	v_lshlrev_b64 v[18:19], 2, v[18:19]
	v_mul_lo_u32 v20, s44, v22
	v_mov_b32_e32 v5, s25
	v_add_co_u32_e32 v18, vcc, s24, v18
	v_ashrrev_i32_e32 v21, 31, v20
	v_addc_co_u32_e32 v19, vcc, v5, v19, vcc
	v_lshlrev_b64 v[20:21], 2, v[20:21]
	v_mul_lo_u32 v22, s45, v22
	v_mul_lo_u32 v1, v4, s14
	v_mov_b32_e32 v3, s27
	v_add_co_u32_e32 v20, vcc, s26, v20
	v_ashrrev_i32_e32 v23, 31, v22
	v_mad_u64_u32 v[4:5], s[2:3], s42, v6, v[4:5]
	v_addc_co_u32_e32 v21, vcc, v3, v21, vcc
	v_lshlrev_b64 v[22:23], 2, v[22:23]
	v_mul_lo_u32 v4, v4, s23
	v_mov_b32_e32 v3, s29
	v_add_co_u32_e32 v22, vcc, s28, v22
	v_ashrrev_i32_e32 v5, 31, v4
	v_addc_co_u32_e32 v23, vcc, v3, v23, vcc
	v_lshlrev_b64 v[4:5], 2, v[4:5]
	v_sub_u32_e32 v2, v9, v2
	v_mov_b32_e32 v3, s31
	v_add_co_u32_e32 v4, vcc, s30, v4
	v_subrev_u32_e32 v17, s12, v1
	v_mul_lo_u32 v1, v2, s15
	v_addc_co_u32_e32 v5, vcc, v3, v5, vcc
	v_ashrrev_i32_e32 v3, 31, v2
	v_lshlrev_b64 v[2:3], 2, v[2:3]
	v_add_u32_e32 v26, s13, v1
	v_sub_u32_e32 v1, v27, v28
	v_add_co_u32_e32 v2, vcc, v4, v2
	v_mul_lo_u32 v1, s36, v1
	v_addc_co_u32_e32 v3, vcc, v5, v3, vcc
	v_add3_u32 v27, v1, s36, v9
	v_mul_lo_u32 v1, s36, v29
	v_add_co_u32_e32 v24, vcc, 4, v18
	v_sub_u32_e32 v28, v9, v1
	s_mov_b32 s59, 0
	v_addc_co_u32_e32 v25, vcc, 0, v19, vcc
	v_mov_b32_e32 v29, v28
	s_branch .LBB0_6
.LBB0_5:                                ;   in Loop: Header=BB0_6 Depth=2
	s_add_i32 s59, s59, 1
	v_add_u32_e32 v27, s57, v27
	v_add_u32_e32 v29, s57, v29
	s_cmp_eq_u32 s59, s10
	v_add_u32_e32 v28, s37, v28
	s_cbranch_scc1 .LBB0_2
.LBB0_6:                                ;   Parent Loop BB0_3 Depth=1
                                        ; =>  This Loop Header: Depth=2
                                        ;       Child Loop BB0_10 Depth 3
	s_andn2_b64 vcc, exec, s[34:35]
	s_cbranch_vccnz .LBB0_5
; %bb.7:                                ;   in Loop: Header=BB0_6 Depth=2
	s_mul_i32 s2, s59, s16
	v_add_u32_e32 v1, s2, v17
	v_cvt_f32_i32_e32 v30, v1
	s_mov_b32 s60, 0
	v_mov_b32_e32 v4, v28
	v_mov_b32_e32 v31, v26
	s_mov_b32 s61, s11
	s_branch .LBB0_10
.LBB0_8:                                ;   in Loop: Header=BB0_10 Depth=3
	s_or_b64 exec, exec, s[2:3]
	v_cvt_f32_i32_e32 v8, v8
	v_cvt_f32_i32_e32 v33, v33
	v_sub_f32_e32 v32, v32, v8
	v_pk_add_f32 v[38:39], v[0:1], v[32:33] neg_lo:[0,1] neg_hi:[0,1]
	v_sub_f32_e32 v40, 1.0, v39
	v_mov_b32_e32 v41, v38
	v_mul_f32_e32 v1, v40, v32
	v_pk_mul_f32 v[40:41], v[38:39], v[40:41]
	s_waitcnt vmcnt(0)
	v_pk_mul_f32 v[6:7], v[40:41], v[6:7]
	v_fma_f32 v1, v1, v34, v6
	v_mul_f32_e32 v8, v39, v32
	v_add_f32_e32 v6, v1, v7
	v_fmac_f32_e32 v6, v8, v36
.LBB0_9:                                ;   in Loop: Header=BB0_10 Depth=3
	s_or_b64 exec, exec, s[6:7]
	s_waitcnt vmcnt(0)
	v_mul_f32_e32 v1, v5, v6
	global_store_dword v[2:3], v1, off
	v_mov_b32_e32 v1, s19
	v_add_co_u32_e32 v2, vcc, s18, v2
	s_add_i32 s61, s61, -1
	s_add_i32 s60, s60, s58
	v_addc_co_u32_e32 v3, vcc, v3, v1, vcc
	v_add_u32_e32 v31, s17, v31
	s_cmp_eq_u32 s61, 0
	v_add_u32_e32 v4, s36, v4
	s_cbranch_scc1 .LBB0_5
.LBB0_10:                               ;   Parent Loop BB0_3 Depth=1
                                        ;     Parent Loop BB0_6 Depth=2
                                        ; =>    This Inner Loop Header: Depth=3
	v_add_u32_e32 v6, s60, v29
	v_ashrrev_i32_e32 v7, 31, v6
	v_add_u32_e32 v32, s60, v27
	v_lshlrev_b64 v[6:7], 2, v[6:7]
	v_add_co_u32_e32 v6, vcc, v20, v6
	v_ashrrev_i32_e32 v33, 31, v32
	v_addc_co_u32_e32 v7, vcc, v21, v7, vcc
	v_lshlrev_b64 v[32:33], 2, v[32:33]
	v_add_co_u32_e32 v32, vcc, v20, v32
	v_addc_co_u32_e32 v33, vcc, v21, v33, vcc
	global_load_dword v1, v[6:7], off
	global_load_dword v8, v[32:33], off
	v_ashrrev_i32_e32 v5, 31, v4
	v_lshlrev_b64 v[6:7], 2, v[4:5]
	v_add_co_u32_e32 v6, vcc, v22, v6
	v_addc_co_u32_e32 v7, vcc, v23, v7, vcc
	global_load_dword v5, v[6:7], off
	v_cvt_f32_i32_e32 v6, v31
	s_waitcnt vmcnt(2)
	v_add_f32_e32 v1, v1, v30
	s_waitcnt vmcnt(1)
	v_add_f32_e32 v32, v8, v6
	v_cmp_lt_f32_e32 vcc, -1.0, v1
	v_cmp_lt_f32_e64 s[2:3], -1.0, v32
	v_cmp_lt_f32_e64 s[4:5], v1, v10
	s_and_b64 s[2:3], vcc, s[2:3]
	v_cmp_lt_f32_e64 s[6:7], v32, v11
	s_and_b64 s[2:3], s[4:5], s[2:3]
	s_and_b64 s[2:3], s[2:3], s[6:7]
	v_mov_b32_e32 v6, 0
	s_and_saveexec_b64 s[6:7], s[2:3]
	s_cbranch_execz .LBB0_9
; %bb.11:                               ;   in Loop: Header=BB0_10 Depth=3
	v_floor_f32_e32 v6, v1
	v_cvt_i32_f32_e32 v33, v6
	v_floor_f32_e32 v6, v32
	v_cvt_i32_f32_e32 v8, v6
	v_mov_b32_e32 v34, 0
	v_cmp_lt_i32_e64 s[4:5], -1, v33
	v_mov_b32_e32 v6, 0
	v_cmp_lt_i32_e32 vcc, -1, v8
	s_and_b64 s[2:3], s[4:5], vcc
	s_and_saveexec_b64 s[40:41], s[2:3]
	s_cbranch_execz .LBB0_13
; %bb.12:                               ;   in Loop: Header=BB0_10 Depth=3
	v_mad_u64_u32 v[6:7], s[2:3], v33, s9, v[8:9]
	v_ashrrev_i32_e32 v7, 31, v6
	v_lshlrev_b64 v[6:7], 2, v[6:7]
	v_add_co_u32_e64 v6, s[2:3], v18, v6
	v_addc_co_u32_e64 v7, s[2:3], v19, v7, s[2:3]
	global_load_dword v6, v[6:7], off
.LBB0_13:                               ;   in Loop: Header=BB0_10 Depth=3
	s_or_b64 exec, exec, s[40:41]
	v_cmp_gt_i32_e64 s[2:3], s47, v8
	s_and_b64 s[4:5], s[4:5], s[2:3]
	v_ashrrev_i32_e32 v35, 31, v8
	s_and_saveexec_b64 s[40:41], s[4:5]
	s_cbranch_execz .LBB0_15
; %bb.14:                               ;   in Loop: Header=BB0_10 Depth=3
	v_mul_lo_u32 v7, v33, s9
	v_ashrrev_i32_e32 v34, 31, v7
	v_add_co_u32_e64 v36, s[4:5], v8, v7
	v_addc_co_u32_e64 v37, s[4:5], v35, v34, s[4:5]
	v_lshlrev_b64 v[36:37], 2, v[36:37]
	v_add_co_u32_e64 v36, s[4:5], v24, v36
	v_addc_co_u32_e64 v37, s[4:5], v25, v37, s[4:5]
	global_load_dword v34, v[36:37], off
.LBB0_15:                               ;   in Loop: Header=BB0_10 Depth=3
	s_or_b64 exec, exec, s[40:41]
	v_cmp_gt_i32_e64 s[4:5], s8, v33
	v_add_u32_e32 v37, 1, v33
	s_and_b64 s[62:63], s[4:5], vcc
	v_mov_b32_e32 v36, 0
	v_mov_b32_e32 v7, 0
	s_and_saveexec_b64 s[40:41], s[62:63]
	s_cbranch_execz .LBB0_17
; %bb.16:                               ;   in Loop: Header=BB0_10 Depth=3
	v_mad_u64_u32 v[38:39], s[62:63], v37, s9, v[8:9]
	v_ashrrev_i32_e32 v39, 31, v38
	v_lshlrev_b64 v[38:39], 2, v[38:39]
	v_add_co_u32_e32 v38, vcc, v18, v38
	v_addc_co_u32_e32 v39, vcc, v19, v39, vcc
	global_load_dword v7, v[38:39], off
.LBB0_17:                               ;   in Loop: Header=BB0_10 Depth=3
	s_or_b64 exec, exec, s[40:41]
	s_and_b64 s[4:5], s[4:5], s[2:3]
	s_and_saveexec_b64 s[2:3], s[4:5]
	s_cbranch_execz .LBB0_8
; %bb.18:                               ;   in Loop: Header=BB0_10 Depth=3
	v_mul_lo_u32 v36, v37, s9
	v_ashrrev_i32_e32 v37, 31, v36
	v_add_co_u32_e32 v36, vcc, v36, v8
	v_addc_co_u32_e32 v37, vcc, v37, v35, vcc
	v_lshlrev_b64 v[36:37], 2, v[36:37]
	v_add_co_u32_e32 v36, vcc, v24, v36
	v_addc_co_u32_e32 v37, vcc, v25, v37, vcc
	global_load_dword v36, v[36:37], off
	s_branch .LBB0_8
.LBB0_19:
	s_endpgm
	.section	.rodata,"a",@progbits
	.p2align	6, 0x0
	.amdhsa_kernel _Z38modulated_deformable_im2col_gpu_kerneliPKfS0_S0_iiiiiiiiiiiiiiiiPf
		.amdhsa_group_segment_fixed_size 0
		.amdhsa_private_segment_fixed_size 0
		.amdhsa_kernarg_size 360
		.amdhsa_user_sgpr_count 6
		.amdhsa_user_sgpr_private_segment_buffer 1
		.amdhsa_user_sgpr_dispatch_ptr 0
		.amdhsa_user_sgpr_queue_ptr 0
		.amdhsa_user_sgpr_kernarg_segment_ptr 1
		.amdhsa_user_sgpr_dispatch_id 0
		.amdhsa_user_sgpr_flat_scratch_init 0
		.amdhsa_user_sgpr_kernarg_preload_length 0
		.amdhsa_user_sgpr_kernarg_preload_offset 0
		.amdhsa_user_sgpr_private_segment_size 0
		.amdhsa_uses_dynamic_stack 0
		.amdhsa_system_sgpr_private_segment_wavefront_offset 0
		.amdhsa_system_sgpr_workgroup_id_x 1
		.amdhsa_system_sgpr_workgroup_id_y 0
		.amdhsa_system_sgpr_workgroup_id_z 0
		.amdhsa_system_sgpr_workgroup_info 0
		.amdhsa_system_vgpr_workitem_id 0
		.amdhsa_next_free_vgpr 42
		.amdhsa_next_free_sgpr 64
		.amdhsa_accum_offset 44
		.amdhsa_reserve_vcc 1
		.amdhsa_reserve_flat_scratch 0
		.amdhsa_float_round_mode_32 0
		.amdhsa_float_round_mode_16_64 0
		.amdhsa_float_denorm_mode_32 3
		.amdhsa_float_denorm_mode_16_64 3
		.amdhsa_dx10_clamp 1
		.amdhsa_ieee_mode 1
		.amdhsa_fp16_overflow 0
		.amdhsa_tg_split 0
		.amdhsa_exception_fp_ieee_invalid_op 0
		.amdhsa_exception_fp_denorm_src 0
		.amdhsa_exception_fp_ieee_div_zero 0
		.amdhsa_exception_fp_ieee_overflow 0
		.amdhsa_exception_fp_ieee_underflow 0
		.amdhsa_exception_fp_ieee_inexact 0
		.amdhsa_exception_int_div_zero 0
	.end_amdhsa_kernel
	.text
.Lfunc_end0:
	.size	_Z38modulated_deformable_im2col_gpu_kerneliPKfS0_S0_iiiiiiiiiiiiiiiiPf, .Lfunc_end0-_Z38modulated_deformable_im2col_gpu_kerneliPKfS0_S0_iiiiiiiiiiiiiiiiPf
                                        ; -- End function
	.section	.AMDGPU.csdata,"",@progbits
; Kernel info:
; codeLenInByte = 1840
; NumSgprs: 68
; NumVgprs: 42
; NumAgprs: 0
; TotalNumVgprs: 42
; ScratchSize: 0
; MemoryBound: 0
; FloatMode: 240
; IeeeMode: 1
; LDSByteSize: 0 bytes/workgroup (compile time only)
; SGPRBlocks: 8
; VGPRBlocks: 5
; NumSGPRsForWavesPerEU: 68
; NumVGPRsForWavesPerEU: 42
; AccumOffset: 44
; Occupancy: 8
; WaveLimiterHint : 0
; COMPUTE_PGM_RSRC2:SCRATCH_EN: 0
; COMPUTE_PGM_RSRC2:USER_SGPR: 6
; COMPUTE_PGM_RSRC2:TRAP_HANDLER: 0
; COMPUTE_PGM_RSRC2:TGID_X_EN: 1
; COMPUTE_PGM_RSRC2:TGID_Y_EN: 0
; COMPUTE_PGM_RSRC2:TGID_Z_EN: 0
; COMPUTE_PGM_RSRC2:TIDIG_COMP_CNT: 0
; COMPUTE_PGM_RSRC3_GFX90A:ACCUM_OFFSET: 10
; COMPUTE_PGM_RSRC3_GFX90A:TG_SPLIT: 0
	.text
	.protected	_Z38modulated_deformable_col2im_gpu_kerneliPKfS0_S0_iiiiiiiiiiiiiiiiPf ; -- Begin function _Z38modulated_deformable_col2im_gpu_kerneliPKfS0_S0_iiiiiiiiiiiiiiiiPf
	.globl	_Z38modulated_deformable_col2im_gpu_kerneliPKfS0_S0_iiiiiiiiiiiiiiiiPf
	.p2align	8
	.type	_Z38modulated_deformable_col2im_gpu_kerneliPKfS0_S0_iiiiiiiiiiiiiiiiPf,@function
_Z38modulated_deformable_col2im_gpu_kerneliPKfS0_S0_iiiiiiiiiiiiiiiiPf: ; @_Z38modulated_deformable_col2im_gpu_kerneliPKfS0_S0_iiiiiiiiiiiiiiiiPf
; %bb.0:
	s_load_dword s2, s[4:5], 0x74
	s_load_dword s33, s[4:5], 0x0
	s_add_u32 s0, s4, 0x68
	s_addc_u32 s1, s5, 0
	s_waitcnt lgkmcnt(0)
	s_and_b32 s2, s2, 0xffff
	s_mul_i32 s6, s6, s2
	v_add_u32_e32 v0, s6, v0
	v_cmp_gt_i32_e32 vcc, s33, v0
	s_and_saveexec_b64 s[6:7], vcc
	s_cbranch_execz .LBB1_158
; %bb.1:
	s_load_dwordx16 s[12:27], s[4:5], 0x20
	s_load_dwordx4 s[28:31], s[4:5], 0x8
	s_load_dwordx2 s[34:35], s[4:5], 0x18
	s_load_dwordx2 s[36:37], s[4:5], 0x60
	s_load_dword s53, s[0:1], 0x0
	s_waitcnt lgkmcnt(0)
	s_abs_i32 s50, s27
	v_cvt_f32_u32_e32 v1, s50
	s_abs_i32 s54, s26
	v_cvt_f32_u32_e32 v2, s54
	s_sub_i32 s0, 0, s50
	v_rcp_iflag_f32_e32 v1, v1
	s_abs_i32 s56, s24
	v_rcp_iflag_f32_e32 v2, v2
	s_abs_i32 s58, s16
	v_mul_f32_e32 v1, 0x4f7ffffe, v1
	v_cvt_u32_f32_e32 v1, v1
	s_abs_i32 s61, s15
	s_abs_i32 s62, s23
	s_mul_i32 s3, s16, s26
	v_mul_lo_u32 v3, s0, v1
	v_mul_hi_u32 v3, v1, v3
	v_add_u32_e32 v16, v1, v3
	v_mul_f32_e32 v1, 0x4f7ffffe, v2
	v_cvt_f32_u32_e32 v2, s56
	v_cvt_u32_f32_e32 v1, v1
	s_sub_i32 s0, 0, s54
	s_mul_i32 s51, s3, s27
	v_rcp_iflag_f32_e32 v2, v2
	v_mul_lo_u32 v3, s0, v1
	v_mul_hi_u32 v3, v1, v3
	v_add_u32_e32 v17, v1, v3
	v_mul_f32_e32 v1, 0x4f7ffffe, v2
	v_cvt_f32_u32_e32 v2, s58
	v_cvt_u32_f32_e32 v1, v1
	s_sub_i32 s0, 0, s56
	s_mul_i32 s51, s51, s15
	v_rcp_iflag_f32_e32 v2, v2
	v_mul_lo_u32 v3, s0, v1
	v_mul_hi_u32 v3, v1, v3
	v_add_u32_e32 v18, v1, v3
	v_mul_f32_e32 v1, 0x4f7ffffe, v2
	v_cvt_u32_f32_e32 v1, v1
	v_cvt_f32_u32_e32 v2, s61
	s_sub_i32 s0, 0, s58
	s_lshl_b32 s52, s51, 1
	v_mul_lo_u32 v3, s0, v1
	v_rcp_iflag_f32_e32 v2, v2
	v_mul_hi_u32 v3, v1, v3
	v_add_u32_e32 v19, v1, v3
	v_cvt_f32_u32_e32 v1, s62
	v_mul_f32_e32 v2, 0x4f7ffffe, v2
	v_cvt_u32_f32_e32 v2, v2
	s_sub_i32 s0, 0, s61
	v_rcp_iflag_f32_e32 v1, v1
	s_ashr_i32 s55, s27, 31
	s_ashr_i32 s57, s26, 31
	;; [unrolled: 1-line block ×5, first 2 shown]
	v_mul_lo_u32 v3, s0, v2
	s_ashr_i32 s23, s23, 31
	s_sub_i32 s0, 0, s62
	v_mul_f32_e32 v1, 0x4f7ffffe, v1
	s_add_u32 s64, s36, -8
	v_cvt_u32_f32_e32 v1, v1
	s_addc_u32 s65, s37, -1
	s_add_u32 s66, s36, -4
	s_addc_u32 s67, s37, -1
	v_cvt_f32_u32_e32 v14, s13
	v_cvt_f32_u32_e32 v15, s14
	v_mul_hi_u32 v3, v2, v3
	s_add_u32 s68, s36, 4
	v_add_u32_e32 v20, v2, v3
	v_mul_lo_u32 v2, s0, v1
	s_addc_u32 s69, s37, 0
	v_mul_hi_u32 v2, v1, v2
	s_add_u32 s70, s36, 8
	s_mul_i32 s53, s53, s2
	v_add_u32_e32 v21, v1, v2
	s_addc_u32 s71, s37, 0
	s_mov_b64 s[38:39], 0
	v_mov_b32_e32 v22, s31
	v_mov_b32_e32 v23, s35
	;; [unrolled: 1-line block ×3, first 2 shown]
	s_branch .LBB1_3
.LBB1_2:                                ;   in Loop: Header=BB1_3 Depth=1
	s_or_b64 exec, exec, s[42:43]
	v_add_u32_e32 v0, s53, v0
	v_cmp_le_i32_e32 vcc, s33, v0
	s_or_b64 s[38:39], vcc, s[38:39]
	s_andn2_b64 exec, exec, s[38:39]
	s_cbranch_execz .LBB1_158
.LBB1_3:                                ; =>This Loop Header: Depth=1
                                        ;     Child Loop BB1_9 Depth 2
                                        ;     Child Loop BB1_15 Depth 2
                                        ;     Child Loop BB1_21 Depth 2
                                        ;     Child Loop BB1_27 Depth 2
                                        ;     Child Loop BB1_33 Depth 2
                                        ;     Child Loop BB1_40 Depth 2
                                        ;     Child Loop BB1_46 Depth 2
                                        ;     Child Loop BB1_52 Depth 2
                                        ;     Child Loop BB1_58 Depth 2
                                        ;     Child Loop BB1_64 Depth 2
                                        ;     Child Loop BB1_71 Depth 2
                                        ;     Child Loop BB1_77 Depth 2
                                        ;     Child Loop BB1_83 Depth 2
                                        ;     Child Loop BB1_89 Depth 2
                                        ;     Child Loop BB1_95 Depth 2
                                        ;     Child Loop BB1_102 Depth 2
                                        ;     Child Loop BB1_108 Depth 2
                                        ;     Child Loop BB1_114 Depth 2
                                        ;     Child Loop BB1_120 Depth 2
                                        ;     Child Loop BB1_126 Depth 2
                                        ;     Child Loop BB1_133 Depth 2
                                        ;     Child Loop BB1_139 Depth 2
                                        ;     Child Loop BB1_145 Depth 2
                                        ;     Child Loop BB1_151 Depth 2
                                        ;     Child Loop BB1_157 Depth 2
	v_sub_u32_e32 v3, 0, v0
	v_max_i32_e32 v3, v0, v3
	v_mul_hi_u32 v4, v3, v16
	v_mul_lo_u32 v5, v4, s50
	v_sub_u32_e32 v3, v3, v5
	v_add_u32_e32 v5, 1, v4
	v_cmp_le_u32_e32 vcc, s50, v3
	v_cndmask_b32_e32 v4, v4, v5, vcc
	v_subrev_u32_e32 v5, s50, v3
	v_cndmask_b32_e32 v3, v3, v5, vcc
	v_ashrrev_i32_e32 v1, 31, v0
	v_add_u32_e32 v5, 1, v4
	v_cmp_le_u32_e32 vcc, s50, v3
	v_xor_b32_e32 v2, s55, v1
	v_cndmask_b32_e32 v3, v4, v5, vcc
	v_xor_b32_e32 v3, v3, v2
	v_sub_u32_e32 v3, v3, v2
	v_sub_u32_e32 v4, 0, v3
	v_max_i32_e32 v4, v3, v4
	v_mul_hi_u32 v5, v4, v17
	v_mul_lo_u32 v6, v5, s54
	v_sub_u32_e32 v4, v4, v6
	v_add_u32_e32 v6, 1, v5
	v_cmp_le_u32_e32 vcc, s54, v4
	v_cndmask_b32_e32 v5, v5, v6, vcc
	v_subrev_u32_e32 v6, s54, v4
	v_cndmask_b32_e32 v4, v4, v6, vcc
	v_ashrrev_i32_e32 v2, 31, v3
	v_add_u32_e32 v6, 1, v5
	v_cmp_le_u32_e32 vcc, s54, v4
	v_xor_b32_e32 v2, s57, v2
	v_cndmask_b32_e32 v4, v5, v6, vcc
	v_xor_b32_e32 v4, v4, v2
	v_sub_u32_e32 v5, v4, v2
	;; [unrolled: 17-line block ×5, first 2 shown]
	v_mul_lo_u32 v8, v6, s15
	v_sub_u32_e32 v9, v4, v8
	v_sub_u32_e32 v8, 0, v6
	v_max_i32_e32 v8, v6, v8
	v_mul_hi_u32 v10, v8, v21
	v_mul_lo_u32 v11, v10, s62
	v_sub_u32_e32 v8, v8, v11
	v_add_u32_e32 v11, 1, v10
	v_cmp_le_u32_e32 vcc, s62, v8
	v_cndmask_b32_e32 v10, v10, v11, vcc
	v_subrev_u32_e32 v11, s62, v8
	v_cndmask_b32_e32 v8, v8, v11, vcc
	v_mul_lo_u32 v2, v4, s16
	v_ashrrev_i32_e32 v4, 31, v6
	v_add_u32_e32 v11, 1, v10
	v_cmp_le_u32_e32 vcc, s62, v8
	v_xor_b32_e32 v4, s23, v4
	v_cndmask_b32_e32 v8, v10, v11, vcc
	v_sub_u32_e32 v2, v7, v2
	v_xor_b32_e32 v8, v8, v4
	v_mul_lo_u32 v7, v7, s24
	v_sub_u32_e32 v4, v8, v4
	v_sub_u32_e32 v7, v5, v7
	v_mul_lo_u32 v10, v5, s26
	v_mad_u64_u32 v[4:5], s[0:1], v7, s25, v[4:5]
	v_mul_lo_u32 v8, v3, s27
	v_sub_u32_e32 v3, v3, v10
	v_mul_lo_u32 v10, s52, v4
	v_ashrrev_i32_e32 v11, 31, v10
	v_lshlrev_b64 v[10:11], 2, v[10:11]
	v_mul_lo_u32 v4, s51, v4
	v_add_co_u32_e32 v25, vcc, s30, v10
	v_ashrrev_i32_e32 v5, 31, v4
	v_addc_co_u32_e32 v26, vcc, v22, v11, vcc
	v_lshlrev_b64 v[4:5], 2, v[4:5]
	v_add_co_u32_e32 v27, vcc, s34, v4
	v_addc_co_u32_e32 v28, vcc, v23, v5, vcc
	v_mad_u64_u32 v[4:5], s[0:1], v9, s16, v[2:3]
	v_mul_lo_u32 v12, v4, s26
	v_sub_u32_e32 v8, v0, v8
	v_lshl_add_u32 v10, v12, 1, v3
	v_mad_u64_u32 v[4:5], s[0:1], v10, s27, v[8:9]
	v_add_u32_e32 v5, s26, v10
	v_mad_u64_u32 v[10:11], s[0:1], v5, s27, v[8:9]
	v_add_u32_e32 v5, v3, v12
	v_mad_u64_u32 v[12:13], s[0:1], v5, s27, v[8:9]
	v_ashrrev_i32_e32 v5, 31, v4
	v_lshlrev_b64 v[4:5], 2, v[4:5]
	v_add_co_u32_e32 v4, vcc, v25, v4
	v_ashrrev_i32_e32 v11, 31, v10
	v_addc_co_u32_e32 v5, vcc, v26, v5, vcc
	v_lshlrev_b64 v[10:11], 2, v[10:11]
	v_add_co_u32_e32 v10, vcc, v25, v10
	v_addc_co_u32_e32 v11, vcc, v26, v11, vcc
	global_load_dword v25, v[4:5], off
	global_load_dword v26, v[10:11], off
	v_ashrrev_i32_e32 v13, 31, v12
	v_lshlrev_b64 v[4:5], 2, v[12:13]
	v_add_co_u32_e32 v4, vcc, v27, v4
	v_addc_co_u32_e32 v5, vcc, v28, v5, vcc
	global_load_dword v10, v[4:5], off
	v_lshlrev_b64 v[4:5], 2, v[0:1]
	v_add_co_u32_e32 v4, vcc, s28, v4
	v_addc_co_u32_e32 v5, vcc, v24, v5, vcc
	global_load_dword v1, v[4:5], off
	v_mul_lo_u32 v4, v9, s21
	v_subrev_u32_e32 v4, s17, v4
	v_mad_u64_u32 v[4:5], s[0:1], v3, s19, v[4:5]
	v_cvt_f32_i32_e32 v4, v4
	v_mul_lo_u32 v2, v2, s22
	v_subrev_u32_e32 v2, s18, v2
	v_mad_u64_u32 v[2:3], s[0:1], v8, s20, v[2:3]
	v_cvt_f32_i32_e32 v2, v2
	v_mad_u64_u32 v[6:7], s[0:1], v7, s12, v[6:7]
	s_waitcnt vmcnt(3)
	v_add_f32_e32 v28, v25, v4
	v_cvt_i32_f32_e32 v4, v28
	s_waitcnt vmcnt(2)
	v_add_f32_e32 v3, v26, v2
	v_cvt_i32_f32_e32 v2, v3
	v_cmp_ge_f32_e64 s[2:3], -1.0, v3
	v_mad_u64_u32 v[6:7], s[0:1], v6, s13, v[4:5]
	v_floor_f32_e32 v5, v28
	v_cvt_i32_f32_e32 v29, v5
	v_floor_f32_e32 v5, v3
	v_cvt_i32_f32_e32 v26, v5
	v_add_u32_e32 v7, -1, v4
	v_cvt_f32_u32_e32 v32, v7
	v_cmp_ge_f32_e64 s[0:1], v28, v14
	s_waitcnt vmcnt(0)
	v_mul_f32_e32 v1, v10, v1
	v_add_u32_e32 v10, -2, v4
	s_or_b64 s[40:41], s[2:3], s[0:1]
	v_cmp_lt_i32_e64 s[2:3], 1, v4
	v_cmp_gt_i32_e64 s[4:5], s13, v10
	v_add_u32_e32 v5, -2, v6
	v_cmp_ge_f32_e32 vcc, -1.0, v28
	v_cmp_ge_f32_e64 s[0:1], v3, v15
	v_add_u32_e32 v30, 1, v29
	v_add_u32_e32 v27, 1, v26
	v_add_f32_e32 v25, 1.0, v3
	v_add_f32_e32 v31, 1.0, v28
	s_and_b64 s[2:3], s[2:3], s[4:5]
	v_mad_u64_u32 v[8:9], s[4:5], v5, s14, v[2:3]
	v_add_u32_e32 v5, -2, v2
	s_and_saveexec_b64 s[42:43], s[2:3]
	s_cbranch_execz .LBB1_34
; %bb.4:                                ;   in Loop: Header=BB1_3 Depth=1
	v_cvt_f32_u32_e32 v9, v10
	v_cmp_eq_u32_e64 s[4:5], v10, v29
	v_cmp_eq_u32_e64 s[2:3], v30, v10
	v_cmp_gt_i32_e64 s[6:7], 2, v2
	v_sub_f32_e32 v10, v28, v9
	v_cmp_le_i32_e64 s[8:9], s14, v5
	v_cmp_nlt_f32_e64 s[44:45], |v10|, 1.0
	s_or_b64 s[6:7], s[6:7], s[8:9]
	s_or_b64 s[6:7], s[6:7], s[44:45]
	v_sub_f32_e32 v34, v32, v28
	v_sub_f32_e32 v33, v31, v9
	s_xor_b64 s[6:7], s[6:7], -1
	s_and_saveexec_b64 s[46:47], s[6:7]
	s_cbranch_execz .LBB1_10
; %bb.5:                                ;   in Loop: Header=BB1_3 Depth=1
	v_cvt_f32_u32_e32 v9, v5
	v_sub_f32_e32 v10, v3, v9
	v_cmp_lt_f32_e64 s[6:7], |v10|, 1.0
	s_and_b64 exec, exec, s[6:7]
	s_cbranch_execz .LBB1_10
; %bb.6:                                ;   in Loop: Header=BB1_3 Depth=1
	s_or_b64 s[6:7], vcc, s[40:41]
	s_or_b64 s[6:7], s[6:7], s[0:1]
	s_xor_b64 s[6:7], s[6:7], -1
	v_mov_b32_e32 v12, 0
	s_and_saveexec_b64 s[48:49], s[6:7]
	s_cbranch_execz .LBB1_8
; %bb.7:                                ;   in Loop: Header=BB1_3 Depth=1
	v_add_u32_e32 v10, -1, v2
	v_cvt_f32_u32_e32 v10, v10
	v_cmp_eq_u32_e64 s[6:7], v5, v26
	v_cmp_eq_u32_e64 s[8:9], v27, v5
	s_and_b64 s[10:11], s[4:5], s[6:7]
	v_sub_f32_e32 v10, v10, v3
	v_mul_f32_e32 v11, v34, v10
	v_sub_f32_e32 v9, v25, v9
	v_cndmask_b32_e64 v11, 0, v11, s[10:11]
	v_mul_f32_e32 v12, v34, v9
	s_and_b64 s[10:11], s[4:5], s[8:9]
	v_cndmask_b32_e64 v11, v11, v12, s[10:11]
	v_mul_f32_e32 v10, v33, v10
	s_and_b64 s[6:7], s[2:3], s[6:7]
	;; [unrolled: 3-line block ×3, first 2 shown]
	v_cndmask_b32_e64 v12, v10, v9, s[6:7]
.LBB1_8:                                ;   in Loop: Header=BB1_3 Depth=1
	s_or_b64 exec, exec, s[48:49]
	v_ashrrev_i32_e32 v9, 31, v8
	v_lshlrev_b64 v[10:11], 2, v[8:9]
	v_mov_b32_e32 v9, s65
	v_add_co_u32_e64 v10, s[6:7], s64, v10
	v_addc_co_u32_e64 v11, s[6:7], v9, v11, s[6:7]
	global_load_dword v13, v[10:11], off
	v_mul_f32_e32 v9, v1, v12
	s_mov_b64 s[8:9], 0
.LBB1_9:                                ;   Parent Loop BB1_3 Depth=1
                                        ; =>  This Inner Loop Header: Depth=2
	s_waitcnt vmcnt(0)
	v_add_f32_e32 v12, v13, v9
	global_atomic_cmpswap v12, v[10:11], v[12:13], off glc
	s_waitcnt vmcnt(0)
	v_cmp_eq_u32_e64 s[6:7], v12, v13
	s_or_b64 s[8:9], s[6:7], s[8:9]
	v_mov_b32_e32 v13, v12
	s_andn2_b64 exec, exec, s[8:9]
	s_cbranch_execnz .LBB1_9
.LBB1_10:                               ;   in Loop: Header=BB1_3 Depth=1
	s_or_b64 exec, exec, s[46:47]
	v_cmp_gt_i32_e64 s[6:7], 1, v2
	v_cmp_lt_i32_e64 s[8:9], s14, v2
	s_or_b64 s[6:7], s[6:7], s[8:9]
	s_or_b64 s[6:7], s[6:7], s[44:45]
	s_xor_b64 s[6:7], s[6:7], -1
	s_and_saveexec_b64 s[46:47], s[6:7]
	s_cbranch_execz .LBB1_16
; %bb.11:                               ;   in Loop: Header=BB1_3 Depth=1
	v_add_u32_e32 v10, -1, v2
	v_cvt_f32_u32_e32 v9, v10
	v_sub_f32_e32 v11, v3, v9
	v_cmp_lt_f32_e64 s[6:7], |v11|, 1.0
	s_and_b64 exec, exec, s[6:7]
	s_cbranch_execz .LBB1_16
; %bb.12:                               ;   in Loop: Header=BB1_3 Depth=1
	s_or_b64 s[6:7], vcc, s[40:41]
	s_or_b64 s[6:7], s[6:7], s[0:1]
	s_xor_b64 s[6:7], s[6:7], -1
	v_mov_b32_e32 v12, 0
	s_and_saveexec_b64 s[48:49], s[6:7]
	s_cbranch_execz .LBB1_14
; %bb.13:                               ;   in Loop: Header=BB1_3 Depth=1
	v_cvt_f32_u32_e32 v11, v2
	v_cmp_eq_u32_e64 s[6:7], v10, v26
	v_cmp_eq_u32_e64 s[8:9], v27, v10
	s_and_b64 s[10:11], s[4:5], s[6:7]
	v_sub_f32_e32 v10, v11, v3
	v_mul_f32_e32 v11, v34, v10
	v_sub_f32_e32 v9, v25, v9
	v_cndmask_b32_e64 v11, 0, v11, s[10:11]
	v_mul_f32_e32 v12, v34, v9
	s_and_b64 s[10:11], s[4:5], s[8:9]
	v_cndmask_b32_e64 v11, v11, v12, s[10:11]
	v_mul_f32_e32 v10, v33, v10
	s_and_b64 s[6:7], s[2:3], s[6:7]
	;; [unrolled: 3-line block ×3, first 2 shown]
	v_cndmask_b32_e64 v12, v10, v9, s[6:7]
.LBB1_14:                               ;   in Loop: Header=BB1_3 Depth=1
	s_or_b64 exec, exec, s[48:49]
	v_ashrrev_i32_e32 v9, 31, v8
	v_lshlrev_b64 v[10:11], 2, v[8:9]
	v_mov_b32_e32 v9, s67
	v_add_co_u32_e64 v10, s[6:7], s66, v10
	v_addc_co_u32_e64 v11, s[6:7], v9, v11, s[6:7]
	global_load_dword v13, v[10:11], off
	v_mul_f32_e32 v9, v1, v12
	s_mov_b64 s[8:9], 0
.LBB1_15:                               ;   Parent Loop BB1_3 Depth=1
                                        ; =>  This Inner Loop Header: Depth=2
	s_waitcnt vmcnt(0)
	v_add_f32_e32 v12, v13, v9
	global_atomic_cmpswap v12, v[10:11], v[12:13], off glc
	s_waitcnt vmcnt(0)
	v_cmp_eq_u32_e64 s[6:7], v12, v13
	s_or_b64 s[8:9], s[6:7], s[8:9]
	v_mov_b32_e32 v13, v12
	s_andn2_b64 exec, exec, s[8:9]
	s_cbranch_execnz .LBB1_15
.LBB1_16:                               ;   in Loop: Header=BB1_3 Depth=1
	s_or_b64 exec, exec, s[46:47]
	v_cmp_gt_i32_e64 s[6:7], 0, v2
	v_cmp_le_i32_e64 s[8:9], s14, v2
	s_or_b64 s[6:7], s[6:7], s[8:9]
	s_or_b64 s[6:7], s[6:7], s[44:45]
	s_xor_b64 s[6:7], s[6:7], -1
	s_and_saveexec_b64 s[46:47], s[6:7]
	s_cbranch_execz .LBB1_22
; %bb.17:                               ;   in Loop: Header=BB1_3 Depth=1
	v_cvt_f32_u32_e32 v9, v2
	v_sub_f32_e32 v10, v3, v9
	v_cmp_lt_f32_e64 s[6:7], |v10|, 1.0
	s_and_b64 exec, exec, s[6:7]
	s_cbranch_execz .LBB1_22
; %bb.18:                               ;   in Loop: Header=BB1_3 Depth=1
	s_or_b64 s[6:7], vcc, s[40:41]
	s_or_b64 s[6:7], s[6:7], s[0:1]
	s_xor_b64 s[6:7], s[6:7], -1
	v_mov_b32_e32 v12, 0
	s_and_saveexec_b64 s[48:49], s[6:7]
	s_cbranch_execz .LBB1_20
; %bb.19:                               ;   in Loop: Header=BB1_3 Depth=1
	v_add_u32_e32 v10, 1, v2
	v_cvt_f32_u32_e32 v10, v10
	v_cmp_eq_u32_e64 s[6:7], v2, v26
	v_cmp_eq_u32_e64 s[8:9], v27, v2
	s_and_b64 s[10:11], s[4:5], s[6:7]
	v_sub_f32_e32 v10, v10, v3
	v_mul_f32_e32 v11, v34, v10
	v_sub_f32_e32 v9, v25, v9
	v_cndmask_b32_e64 v11, 0, v11, s[10:11]
	v_mul_f32_e32 v12, v34, v9
	s_and_b64 s[10:11], s[4:5], s[8:9]
	v_cndmask_b32_e64 v11, v11, v12, s[10:11]
	v_mul_f32_e32 v10, v33, v10
	s_and_b64 s[6:7], s[2:3], s[6:7]
	v_cndmask_b32_e64 v10, v11, v10, s[6:7]
	v_mul_f32_e32 v9, v33, v9
	s_and_b64 s[6:7], s[2:3], s[8:9]
	v_cndmask_b32_e64 v12, v10, v9, s[6:7]
.LBB1_20:                               ;   in Loop: Header=BB1_3 Depth=1
	s_or_b64 exec, exec, s[48:49]
	v_ashrrev_i32_e32 v9, 31, v8
	v_lshlrev_b64 v[10:11], 2, v[8:9]
	v_mov_b32_e32 v9, s37
	v_add_co_u32_e64 v10, s[6:7], s36, v10
	v_addc_co_u32_e64 v11, s[6:7], v9, v11, s[6:7]
	global_load_dword v13, v[10:11], off
	v_mul_f32_e32 v9, v1, v12
	s_mov_b64 s[8:9], 0
.LBB1_21:                               ;   Parent Loop BB1_3 Depth=1
                                        ; =>  This Inner Loop Header: Depth=2
	s_waitcnt vmcnt(0)
	v_add_f32_e32 v12, v13, v9
	global_atomic_cmpswap v12, v[10:11], v[12:13], off glc
	s_waitcnt vmcnt(0)
	v_cmp_eq_u32_e64 s[6:7], v12, v13
	s_or_b64 s[8:9], s[6:7], s[8:9]
	v_mov_b32_e32 v13, v12
	s_andn2_b64 exec, exec, s[8:9]
	s_cbranch_execnz .LBB1_21
.LBB1_22:                               ;   in Loop: Header=BB1_3 Depth=1
	s_or_b64 exec, exec, s[46:47]
	v_add_u32_e32 v9, 1, v2
	v_cmp_gt_i32_e64 s[6:7], -1, v2
	v_cmp_le_i32_e64 s[8:9], s14, v9
	s_or_b64 s[6:7], s[6:7], s[8:9]
	s_or_b64 s[6:7], s[6:7], s[44:45]
	s_xor_b64 s[6:7], s[6:7], -1
	s_and_saveexec_b64 s[46:47], s[6:7]
	s_cbranch_execz .LBB1_28
; %bb.23:                               ;   in Loop: Header=BB1_3 Depth=1
	v_cvt_f32_u32_e32 v10, v9
	v_sub_f32_e32 v11, v3, v10
	v_cmp_lt_f32_e64 s[6:7], |v11|, 1.0
	s_and_b64 exec, exec, s[6:7]
	s_cbranch_execz .LBB1_28
; %bb.24:                               ;   in Loop: Header=BB1_3 Depth=1
	s_or_b64 s[6:7], vcc, s[40:41]
	s_or_b64 s[6:7], s[6:7], s[0:1]
	s_xor_b64 s[6:7], s[6:7], -1
	v_mov_b32_e32 v12, 0
	s_and_saveexec_b64 s[48:49], s[6:7]
	s_cbranch_execz .LBB1_26
; %bb.25:                               ;   in Loop: Header=BB1_3 Depth=1
	v_add_u32_e32 v11, 2, v2
	v_cvt_f32_u32_e32 v11, v11
	v_cmp_eq_u32_e64 s[6:7], v9, v26
	v_cmp_eq_u32_e64 s[8:9], v26, v2
	s_and_b64 s[10:11], s[4:5], s[6:7]
	v_sub_f32_e32 v9, v11, v3
	v_mul_f32_e32 v11, v34, v9
	v_sub_f32_e32 v10, v25, v10
	v_cndmask_b32_e64 v11, 0, v11, s[10:11]
	v_mul_f32_e32 v12, v34, v10
	s_and_b64 s[10:11], s[4:5], s[8:9]
	v_cndmask_b32_e64 v11, v11, v12, s[10:11]
	v_mul_f32_e32 v9, v33, v9
	s_and_b64 s[6:7], s[2:3], s[6:7]
	;; [unrolled: 3-line block ×3, first 2 shown]
	v_cndmask_b32_e64 v12, v9, v10, s[6:7]
.LBB1_26:                               ;   in Loop: Header=BB1_3 Depth=1
	s_or_b64 exec, exec, s[48:49]
	v_ashrrev_i32_e32 v9, 31, v8
	v_lshlrev_b64 v[10:11], 2, v[8:9]
	v_mov_b32_e32 v9, s69
	v_add_co_u32_e64 v10, s[6:7], s68, v10
	v_addc_co_u32_e64 v11, s[6:7], v9, v11, s[6:7]
	global_load_dword v13, v[10:11], off
	v_mul_f32_e32 v9, v1, v12
	s_mov_b64 s[8:9], 0
.LBB1_27:                               ;   Parent Loop BB1_3 Depth=1
                                        ; =>  This Inner Loop Header: Depth=2
	s_waitcnt vmcnt(0)
	v_add_f32_e32 v12, v13, v9
	global_atomic_cmpswap v12, v[10:11], v[12:13], off glc
	s_waitcnt vmcnt(0)
	v_cmp_eq_u32_e64 s[6:7], v12, v13
	s_or_b64 s[8:9], s[6:7], s[8:9]
	v_mov_b32_e32 v13, v12
	s_andn2_b64 exec, exec, s[8:9]
	s_cbranch_execnz .LBB1_27
.LBB1_28:                               ;   in Loop: Header=BB1_3 Depth=1
	s_or_b64 exec, exec, s[46:47]
	v_add_u32_e32 v9, 2, v2
	v_cmp_gt_i32_e64 s[6:7], -2, v2
	v_cmp_le_i32_e64 s[8:9], s14, v9
	s_or_b64 s[6:7], s[6:7], s[8:9]
	s_or_b64 s[6:7], s[6:7], s[44:45]
	s_xor_b64 s[6:7], s[6:7], -1
	s_and_b64 exec, exec, s[6:7]
	s_cbranch_execz .LBB1_34
; %bb.29:                               ;   in Loop: Header=BB1_3 Depth=1
	v_cvt_f32_u32_e32 v10, v9
	v_sub_f32_e32 v11, v3, v10
	v_cmp_lt_f32_e64 s[6:7], |v11|, 1.0
	s_and_b64 exec, exec, s[6:7]
	s_cbranch_execz .LBB1_34
; %bb.30:                               ;   in Loop: Header=BB1_3 Depth=1
	s_or_b64 s[6:7], vcc, s[40:41]
	s_or_b64 s[6:7], s[6:7], s[0:1]
	s_xor_b64 s[6:7], s[6:7], -1
	v_mov_b32_e32 v12, 0
	s_and_saveexec_b64 s[44:45], s[6:7]
	s_cbranch_execz .LBB1_32
; %bb.31:                               ;   in Loop: Header=BB1_3 Depth=1
	v_add_u32_e32 v11, 3, v2
	v_cvt_f32_u32_e32 v11, v11
	v_cmp_eq_u32_e64 s[6:7], v9, v26
	v_cmp_eq_u32_e64 s[8:9], v27, v9
	s_and_b64 s[10:11], s[4:5], s[6:7]
	v_sub_f32_e32 v9, v11, v3
	v_mul_f32_e32 v11, v34, v9
	v_sub_f32_e32 v10, v25, v10
	v_cndmask_b32_e64 v11, 0, v11, s[10:11]
	v_mul_f32_e32 v12, v34, v10
	s_and_b64 s[4:5], s[4:5], s[8:9]
	v_cndmask_b32_e64 v11, v11, v12, s[4:5]
	v_mul_f32_e32 v9, v33, v9
	s_and_b64 s[4:5], s[2:3], s[6:7]
	;; [unrolled: 3-line block ×3, first 2 shown]
	v_cndmask_b32_e64 v12, v9, v10, s[2:3]
.LBB1_32:                               ;   in Loop: Header=BB1_3 Depth=1
	s_or_b64 exec, exec, s[44:45]
	v_ashrrev_i32_e32 v9, 31, v8
	v_lshlrev_b64 v[10:11], 2, v[8:9]
	v_mov_b32_e32 v9, s71
	v_add_co_u32_e64 v10, s[2:3], s70, v10
	v_addc_co_u32_e64 v11, s[2:3], v9, v11, s[2:3]
	global_load_dword v13, v[10:11], off
	v_mul_f32_e32 v9, v1, v12
	s_mov_b64 s[4:5], 0
.LBB1_33:                               ;   Parent Loop BB1_3 Depth=1
                                        ; =>  This Inner Loop Header: Depth=2
	s_waitcnt vmcnt(0)
	v_add_f32_e32 v12, v13, v9
	global_atomic_cmpswap v12, v[10:11], v[12:13], off glc
	s_waitcnt vmcnt(0)
	v_cmp_eq_u32_e64 s[2:3], v12, v13
	s_or_b64 s[4:5], s[2:3], s[4:5]
	v_mov_b32_e32 v13, v12
	s_andn2_b64 exec, exec, s[4:5]
	s_cbranch_execnz .LBB1_33
.LBB1_34:                               ;   in Loop: Header=BB1_3 Depth=1
	s_or_b64 exec, exec, s[42:43]
	v_cvt_f32_u32_e32 v33, v4
	v_cmp_lt_i32_e64 s[2:3], 0, v4
	v_cmp_ge_i32_e64 s[4:5], s13, v4
	s_and_b64 s[2:3], s[2:3], s[4:5]
	s_and_saveexec_b64 s[42:43], s[2:3]
	s_cbranch_execz .LBB1_65
; %bb.35:                               ;   in Loop: Header=BB1_3 Depth=1
	v_sub_f32_e32 v9, v28, v32
	v_cmp_gt_i32_e64 s[6:7], 2, v2
	v_cmp_le_i32_e64 s[8:9], s14, v5
	v_cmp_nlt_f32_e64 s[44:45], |v9|, 1.0
	s_or_b64 s[6:7], s[6:7], s[8:9]
	s_or_b64 s[6:7], s[6:7], s[44:45]
	v_add_u32_e32 v8, s14, v8
	v_cmp_eq_u32_e64 s[4:5], v7, v29
	v_sub_f32_e32 v34, v33, v28
	v_cmp_eq_u32_e64 s[2:3], v30, v7
	v_sub_f32_e32 v7, v31, v32
	s_xor_b64 s[6:7], s[6:7], -1
	s_and_saveexec_b64 s[46:47], s[6:7]
	s_cbranch_execz .LBB1_41
; %bb.36:                               ;   in Loop: Header=BB1_3 Depth=1
	v_cvt_f32_u32_e32 v9, v5
	v_sub_f32_e32 v10, v3, v9
	v_cmp_lt_f32_e64 s[6:7], |v10|, 1.0
	s_and_b64 exec, exec, s[6:7]
	s_cbranch_execz .LBB1_41
; %bb.37:                               ;   in Loop: Header=BB1_3 Depth=1
	s_or_b64 s[6:7], vcc, s[40:41]
	s_or_b64 s[6:7], s[6:7], s[0:1]
	s_xor_b64 s[6:7], s[6:7], -1
	v_mov_b32_e32 v12, 0
	s_and_saveexec_b64 s[48:49], s[6:7]
	s_cbranch_execz .LBB1_39
; %bb.38:                               ;   in Loop: Header=BB1_3 Depth=1
	v_add_u32_e32 v10, -1, v2
	v_cvt_f32_u32_e32 v10, v10
	v_cmp_eq_u32_e64 s[6:7], v5, v26
	v_cmp_eq_u32_e64 s[8:9], v27, v5
	s_and_b64 s[10:11], s[4:5], s[6:7]
	v_sub_f32_e32 v10, v10, v3
	v_mul_f32_e32 v11, v34, v10
	v_sub_f32_e32 v9, v25, v9
	v_cndmask_b32_e64 v11, 0, v11, s[10:11]
	v_mul_f32_e32 v12, v34, v9
	s_and_b64 s[10:11], s[4:5], s[8:9]
	v_cndmask_b32_e64 v11, v11, v12, s[10:11]
	v_mul_f32_e32 v10, v7, v10
	s_and_b64 s[6:7], s[2:3], s[6:7]
	;; [unrolled: 3-line block ×3, first 2 shown]
	v_cndmask_b32_e64 v12, v10, v9, s[6:7]
.LBB1_39:                               ;   in Loop: Header=BB1_3 Depth=1
	s_or_b64 exec, exec, s[48:49]
	v_ashrrev_i32_e32 v9, 31, v8
	v_lshlrev_b64 v[10:11], 2, v[8:9]
	v_mov_b32_e32 v9, s65
	v_add_co_u32_e64 v10, s[6:7], s64, v10
	v_addc_co_u32_e64 v11, s[6:7], v9, v11, s[6:7]
	global_load_dword v13, v[10:11], off
	v_mul_f32_e32 v9, v1, v12
	s_mov_b64 s[8:9], 0
.LBB1_40:                               ;   Parent Loop BB1_3 Depth=1
                                        ; =>  This Inner Loop Header: Depth=2
	s_waitcnt vmcnt(0)
	v_add_f32_e32 v12, v13, v9
	global_atomic_cmpswap v12, v[10:11], v[12:13], off glc
	s_waitcnt vmcnt(0)
	v_cmp_eq_u32_e64 s[6:7], v12, v13
	s_or_b64 s[8:9], s[6:7], s[8:9]
	v_mov_b32_e32 v13, v12
	s_andn2_b64 exec, exec, s[8:9]
	s_cbranch_execnz .LBB1_40
.LBB1_41:                               ;   in Loop: Header=BB1_3 Depth=1
	s_or_b64 exec, exec, s[46:47]
	v_cmp_gt_i32_e64 s[6:7], 1, v2
	v_cmp_lt_i32_e64 s[8:9], s14, v2
	s_or_b64 s[6:7], s[6:7], s[8:9]
	s_or_b64 s[6:7], s[6:7], s[44:45]
	s_xor_b64 s[6:7], s[6:7], -1
	s_and_saveexec_b64 s[46:47], s[6:7]
	s_cbranch_execz .LBB1_47
; %bb.42:                               ;   in Loop: Header=BB1_3 Depth=1
	v_add_u32_e32 v10, -1, v2
	v_cvt_f32_u32_e32 v9, v10
	v_sub_f32_e32 v11, v3, v9
	v_cmp_lt_f32_e64 s[6:7], |v11|, 1.0
	s_and_b64 exec, exec, s[6:7]
	s_cbranch_execz .LBB1_47
; %bb.43:                               ;   in Loop: Header=BB1_3 Depth=1
	s_or_b64 s[6:7], vcc, s[40:41]
	s_or_b64 s[6:7], s[6:7], s[0:1]
	s_xor_b64 s[6:7], s[6:7], -1
	v_mov_b32_e32 v12, 0
	s_and_saveexec_b64 s[48:49], s[6:7]
	s_cbranch_execz .LBB1_45
; %bb.44:                               ;   in Loop: Header=BB1_3 Depth=1
	v_cvt_f32_u32_e32 v11, v2
	v_cmp_eq_u32_e64 s[6:7], v10, v26
	v_cmp_eq_u32_e64 s[8:9], v27, v10
	s_and_b64 s[10:11], s[4:5], s[6:7]
	v_sub_f32_e32 v10, v11, v3
	v_mul_f32_e32 v11, v34, v10
	v_sub_f32_e32 v9, v25, v9
	v_cndmask_b32_e64 v11, 0, v11, s[10:11]
	v_mul_f32_e32 v12, v34, v9
	s_and_b64 s[10:11], s[4:5], s[8:9]
	v_cndmask_b32_e64 v11, v11, v12, s[10:11]
	v_mul_f32_e32 v10, v7, v10
	s_and_b64 s[6:7], s[2:3], s[6:7]
	;; [unrolled: 3-line block ×3, first 2 shown]
	v_cndmask_b32_e64 v12, v10, v9, s[6:7]
.LBB1_45:                               ;   in Loop: Header=BB1_3 Depth=1
	s_or_b64 exec, exec, s[48:49]
	v_ashrrev_i32_e32 v9, 31, v8
	v_lshlrev_b64 v[10:11], 2, v[8:9]
	v_mov_b32_e32 v9, s67
	v_add_co_u32_e64 v10, s[6:7], s66, v10
	v_addc_co_u32_e64 v11, s[6:7], v9, v11, s[6:7]
	global_load_dword v13, v[10:11], off
	v_mul_f32_e32 v9, v1, v12
	s_mov_b64 s[8:9], 0
.LBB1_46:                               ;   Parent Loop BB1_3 Depth=1
                                        ; =>  This Inner Loop Header: Depth=2
	s_waitcnt vmcnt(0)
	v_add_f32_e32 v12, v13, v9
	global_atomic_cmpswap v12, v[10:11], v[12:13], off glc
	s_waitcnt vmcnt(0)
	v_cmp_eq_u32_e64 s[6:7], v12, v13
	s_or_b64 s[8:9], s[6:7], s[8:9]
	v_mov_b32_e32 v13, v12
	s_andn2_b64 exec, exec, s[8:9]
	s_cbranch_execnz .LBB1_46
.LBB1_47:                               ;   in Loop: Header=BB1_3 Depth=1
	s_or_b64 exec, exec, s[46:47]
	v_cmp_gt_i32_e64 s[6:7], 0, v2
	v_cmp_le_i32_e64 s[8:9], s14, v2
	s_or_b64 s[6:7], s[6:7], s[8:9]
	s_or_b64 s[6:7], s[6:7], s[44:45]
	s_xor_b64 s[6:7], s[6:7], -1
	s_and_saveexec_b64 s[46:47], s[6:7]
	s_cbranch_execz .LBB1_53
; %bb.48:                               ;   in Loop: Header=BB1_3 Depth=1
	v_cvt_f32_u32_e32 v9, v2
	v_sub_f32_e32 v10, v3, v9
	v_cmp_lt_f32_e64 s[6:7], |v10|, 1.0
	s_and_b64 exec, exec, s[6:7]
	s_cbranch_execz .LBB1_53
; %bb.49:                               ;   in Loop: Header=BB1_3 Depth=1
	s_or_b64 s[6:7], vcc, s[40:41]
	s_or_b64 s[6:7], s[6:7], s[0:1]
	s_xor_b64 s[6:7], s[6:7], -1
	v_mov_b32_e32 v12, 0
	s_and_saveexec_b64 s[48:49], s[6:7]
	s_cbranch_execz .LBB1_51
; %bb.50:                               ;   in Loop: Header=BB1_3 Depth=1
	v_add_u32_e32 v10, 1, v2
	v_cvt_f32_u32_e32 v10, v10
	v_cmp_eq_u32_e64 s[6:7], v2, v26
	v_cmp_eq_u32_e64 s[8:9], v27, v2
	s_and_b64 s[10:11], s[4:5], s[6:7]
	v_sub_f32_e32 v10, v10, v3
	v_mul_f32_e32 v11, v34, v10
	v_sub_f32_e32 v9, v25, v9
	v_cndmask_b32_e64 v11, 0, v11, s[10:11]
	v_mul_f32_e32 v12, v34, v9
	s_and_b64 s[10:11], s[4:5], s[8:9]
	v_cndmask_b32_e64 v11, v11, v12, s[10:11]
	v_mul_f32_e32 v10, v7, v10
	s_and_b64 s[6:7], s[2:3], s[6:7]
	v_cndmask_b32_e64 v10, v11, v10, s[6:7]
	v_mul_f32_e32 v9, v7, v9
	s_and_b64 s[6:7], s[2:3], s[8:9]
	v_cndmask_b32_e64 v12, v10, v9, s[6:7]
.LBB1_51:                               ;   in Loop: Header=BB1_3 Depth=1
	s_or_b64 exec, exec, s[48:49]
	v_ashrrev_i32_e32 v9, 31, v8
	v_lshlrev_b64 v[10:11], 2, v[8:9]
	v_mov_b32_e32 v9, s37
	v_add_co_u32_e64 v10, s[6:7], s36, v10
	v_addc_co_u32_e64 v11, s[6:7], v9, v11, s[6:7]
	global_load_dword v13, v[10:11], off
	v_mul_f32_e32 v9, v1, v12
	s_mov_b64 s[8:9], 0
.LBB1_52:                               ;   Parent Loop BB1_3 Depth=1
                                        ; =>  This Inner Loop Header: Depth=2
	s_waitcnt vmcnt(0)
	v_add_f32_e32 v12, v13, v9
	global_atomic_cmpswap v12, v[10:11], v[12:13], off glc
	s_waitcnt vmcnt(0)
	v_cmp_eq_u32_e64 s[6:7], v12, v13
	s_or_b64 s[8:9], s[6:7], s[8:9]
	v_mov_b32_e32 v13, v12
	s_andn2_b64 exec, exec, s[8:9]
	s_cbranch_execnz .LBB1_52
.LBB1_53:                               ;   in Loop: Header=BB1_3 Depth=1
	s_or_b64 exec, exec, s[46:47]
	v_add_u32_e32 v9, 1, v2
	v_cmp_gt_i32_e64 s[6:7], -1, v2
	v_cmp_le_i32_e64 s[8:9], s14, v9
	s_or_b64 s[6:7], s[6:7], s[8:9]
	s_or_b64 s[6:7], s[6:7], s[44:45]
	s_xor_b64 s[6:7], s[6:7], -1
	s_and_saveexec_b64 s[46:47], s[6:7]
	s_cbranch_execz .LBB1_59
; %bb.54:                               ;   in Loop: Header=BB1_3 Depth=1
	v_cvt_f32_u32_e32 v10, v9
	v_sub_f32_e32 v11, v3, v10
	v_cmp_lt_f32_e64 s[6:7], |v11|, 1.0
	s_and_b64 exec, exec, s[6:7]
	s_cbranch_execz .LBB1_59
; %bb.55:                               ;   in Loop: Header=BB1_3 Depth=1
	s_or_b64 s[6:7], vcc, s[40:41]
	s_or_b64 s[6:7], s[6:7], s[0:1]
	s_xor_b64 s[6:7], s[6:7], -1
	v_mov_b32_e32 v12, 0
	s_and_saveexec_b64 s[48:49], s[6:7]
	s_cbranch_execz .LBB1_57
; %bb.56:                               ;   in Loop: Header=BB1_3 Depth=1
	v_add_u32_e32 v11, 2, v2
	v_cvt_f32_u32_e32 v11, v11
	v_cmp_eq_u32_e64 s[6:7], v9, v26
	v_cmp_eq_u32_e64 s[8:9], v26, v2
	s_and_b64 s[10:11], s[4:5], s[6:7]
	v_sub_f32_e32 v9, v11, v3
	v_mul_f32_e32 v11, v34, v9
	v_sub_f32_e32 v10, v25, v10
	v_cndmask_b32_e64 v11, 0, v11, s[10:11]
	v_mul_f32_e32 v12, v34, v10
	s_and_b64 s[10:11], s[4:5], s[8:9]
	v_cndmask_b32_e64 v11, v11, v12, s[10:11]
	v_mul_f32_e32 v9, v7, v9
	s_and_b64 s[6:7], s[2:3], s[6:7]
	;; [unrolled: 3-line block ×3, first 2 shown]
	v_cndmask_b32_e64 v12, v9, v10, s[6:7]
.LBB1_57:                               ;   in Loop: Header=BB1_3 Depth=1
	s_or_b64 exec, exec, s[48:49]
	v_ashrrev_i32_e32 v9, 31, v8
	v_lshlrev_b64 v[10:11], 2, v[8:9]
	v_mov_b32_e32 v9, s69
	v_add_co_u32_e64 v10, s[6:7], s68, v10
	v_addc_co_u32_e64 v11, s[6:7], v9, v11, s[6:7]
	global_load_dword v13, v[10:11], off
	v_mul_f32_e32 v9, v1, v12
	s_mov_b64 s[8:9], 0
.LBB1_58:                               ;   Parent Loop BB1_3 Depth=1
                                        ; =>  This Inner Loop Header: Depth=2
	s_waitcnt vmcnt(0)
	v_add_f32_e32 v12, v13, v9
	global_atomic_cmpswap v12, v[10:11], v[12:13], off glc
	s_waitcnt vmcnt(0)
	v_cmp_eq_u32_e64 s[6:7], v12, v13
	s_or_b64 s[8:9], s[6:7], s[8:9]
	v_mov_b32_e32 v13, v12
	s_andn2_b64 exec, exec, s[8:9]
	s_cbranch_execnz .LBB1_58
.LBB1_59:                               ;   in Loop: Header=BB1_3 Depth=1
	s_or_b64 exec, exec, s[46:47]
	v_add_u32_e32 v9, 2, v2
	v_cmp_gt_i32_e64 s[6:7], -2, v2
	v_cmp_le_i32_e64 s[8:9], s14, v9
	s_or_b64 s[6:7], s[6:7], s[8:9]
	s_or_b64 s[6:7], s[6:7], s[44:45]
	s_xor_b64 s[6:7], s[6:7], -1
	s_and_b64 exec, exec, s[6:7]
	s_cbranch_execz .LBB1_65
; %bb.60:                               ;   in Loop: Header=BB1_3 Depth=1
	v_cvt_f32_u32_e32 v10, v9
	v_sub_f32_e32 v11, v3, v10
	v_cmp_lt_f32_e64 s[6:7], |v11|, 1.0
	s_and_b64 exec, exec, s[6:7]
	s_cbranch_execz .LBB1_65
; %bb.61:                               ;   in Loop: Header=BB1_3 Depth=1
	s_or_b64 s[6:7], vcc, s[40:41]
	s_or_b64 s[6:7], s[6:7], s[0:1]
	s_xor_b64 s[6:7], s[6:7], -1
	v_mov_b32_e32 v12, 0
	s_and_saveexec_b64 s[44:45], s[6:7]
	s_cbranch_execz .LBB1_63
; %bb.62:                               ;   in Loop: Header=BB1_3 Depth=1
	v_add_u32_e32 v11, 3, v2
	v_cvt_f32_u32_e32 v11, v11
	v_cmp_eq_u32_e64 s[6:7], v9, v26
	v_cmp_eq_u32_e64 s[8:9], v27, v9
	s_and_b64 s[10:11], s[4:5], s[6:7]
	v_sub_f32_e32 v9, v11, v3
	v_mul_f32_e32 v11, v34, v9
	v_sub_f32_e32 v10, v25, v10
	v_cndmask_b32_e64 v11, 0, v11, s[10:11]
	v_mul_f32_e32 v12, v34, v10
	s_and_b64 s[4:5], s[4:5], s[8:9]
	v_cndmask_b32_e64 v11, v11, v12, s[4:5]
	v_mul_f32_e32 v9, v7, v9
	s_and_b64 s[4:5], s[2:3], s[6:7]
	;; [unrolled: 3-line block ×3, first 2 shown]
	v_cndmask_b32_e64 v12, v9, v7, s[2:3]
.LBB1_63:                               ;   in Loop: Header=BB1_3 Depth=1
	s_or_b64 exec, exec, s[44:45]
	v_ashrrev_i32_e32 v9, 31, v8
	v_lshlrev_b64 v[8:9], 2, v[8:9]
	v_mov_b32_e32 v7, s71
	v_add_co_u32_e64 v8, s[2:3], s70, v8
	v_addc_co_u32_e64 v9, s[2:3], v7, v9, s[2:3]
	global_load_dword v11, v[8:9], off
	v_mul_f32_e32 v7, v1, v12
	s_mov_b64 s[4:5], 0
.LBB1_64:                               ;   Parent Loop BB1_3 Depth=1
                                        ; =>  This Inner Loop Header: Depth=2
	s_waitcnt vmcnt(0)
	v_add_f32_e32 v10, v11, v7
	global_atomic_cmpswap v10, v[8:9], v[10:11], off glc
	s_waitcnt vmcnt(0)
	v_cmp_eq_u32_e64 s[2:3], v10, v11
	s_or_b64 s[4:5], s[2:3], s[4:5]
	v_mov_b32_e32 v11, v10
	s_andn2_b64 exec, exec, s[4:5]
	s_cbranch_execnz .LBB1_64
.LBB1_65:                               ;   in Loop: Header=BB1_3 Depth=1
	s_or_b64 exec, exec, s[42:43]
	v_add_u32_e32 v34, 1, v4
	v_cvt_f32_u32_e32 v32, v34
	v_cmp_lt_i32_e64 s[2:3], -1, v4
	v_cmp_gt_i32_e64 s[4:5], s13, v4
	s_and_b64 s[4:5], s[2:3], s[4:5]
	v_mad_u64_u32 v[6:7], s[2:3], v6, s14, v[2:3]
	v_cmp_eq_u32_e64 s[2:3], v4, v29
	s_and_saveexec_b64 s[42:43], s[4:5]
	s_cbranch_execz .LBB1_96
; %bb.66:                               ;   in Loop: Header=BB1_3 Depth=1
	v_sub_f32_e32 v7, v28, v33
	v_cmp_gt_i32_e64 s[6:7], 2, v2
	v_cmp_le_i32_e64 s[8:9], s14, v5
	v_cmp_nlt_f32_e64 s[44:45], |v7|, 1.0
	s_or_b64 s[6:7], s[6:7], s[8:9]
	s_or_b64 s[6:7], s[6:7], s[44:45]
	v_sub_f32_e32 v13, v32, v28
	v_cmp_eq_u32_e64 s[4:5], v30, v4
	v_sub_f32_e32 v12, v31, v33
	s_xor_b64 s[6:7], s[6:7], -1
	s_and_saveexec_b64 s[46:47], s[6:7]
	s_cbranch_execz .LBB1_72
; %bb.67:                               ;   in Loop: Header=BB1_3 Depth=1
	v_cvt_f32_u32_e32 v7, v5
	v_sub_f32_e32 v8, v3, v7
	v_cmp_lt_f32_e64 s[6:7], |v8|, 1.0
	s_and_b64 exec, exec, s[6:7]
	s_cbranch_execz .LBB1_72
; %bb.68:                               ;   in Loop: Header=BB1_3 Depth=1
	s_or_b64 s[6:7], vcc, s[40:41]
	s_or_b64 s[6:7], s[6:7], s[0:1]
	s_xor_b64 s[6:7], s[6:7], -1
	v_mov_b32_e32 v10, 0
	s_and_saveexec_b64 s[48:49], s[6:7]
	s_cbranch_execz .LBB1_70
; %bb.69:                               ;   in Loop: Header=BB1_3 Depth=1
	v_add_u32_e32 v8, -1, v2
	v_cvt_f32_u32_e32 v8, v8
	v_cmp_eq_u32_e64 s[6:7], v5, v26
	v_cmp_eq_u32_e64 s[8:9], v27, v5
	s_and_b64 s[10:11], s[2:3], s[6:7]
	v_sub_f32_e32 v8, v8, v3
	v_mul_f32_e32 v9, v13, v8
	v_sub_f32_e32 v7, v25, v7
	v_cndmask_b32_e64 v9, 0, v9, s[10:11]
	v_mul_f32_e32 v10, v13, v7
	s_and_b64 s[10:11], s[2:3], s[8:9]
	v_cndmask_b32_e64 v9, v9, v10, s[10:11]
	v_mul_f32_e32 v8, v12, v8
	s_and_b64 s[6:7], s[4:5], s[6:7]
	;; [unrolled: 3-line block ×3, first 2 shown]
	v_cndmask_b32_e64 v10, v8, v7, s[6:7]
.LBB1_70:                               ;   in Loop: Header=BB1_3 Depth=1
	s_or_b64 exec, exec, s[48:49]
	v_ashrrev_i32_e32 v7, 31, v6
	v_lshlrev_b64 v[8:9], 2, v[6:7]
	v_mov_b32_e32 v7, s65
	v_add_co_u32_e64 v8, s[6:7], s64, v8
	v_addc_co_u32_e64 v9, s[6:7], v7, v9, s[6:7]
	global_load_dword v11, v[8:9], off
	v_mul_f32_e32 v7, v1, v10
	s_mov_b64 s[8:9], 0
.LBB1_71:                               ;   Parent Loop BB1_3 Depth=1
                                        ; =>  This Inner Loop Header: Depth=2
	s_waitcnt vmcnt(0)
	v_add_f32_e32 v10, v11, v7
	global_atomic_cmpswap v10, v[8:9], v[10:11], off glc
	s_waitcnt vmcnt(0)
	v_cmp_eq_u32_e64 s[6:7], v10, v11
	s_or_b64 s[8:9], s[6:7], s[8:9]
	v_mov_b32_e32 v11, v10
	s_andn2_b64 exec, exec, s[8:9]
	s_cbranch_execnz .LBB1_71
.LBB1_72:                               ;   in Loop: Header=BB1_3 Depth=1
	s_or_b64 exec, exec, s[46:47]
	v_cmp_gt_i32_e64 s[6:7], 1, v2
	v_cmp_lt_i32_e64 s[8:9], s14, v2
	s_or_b64 s[6:7], s[6:7], s[8:9]
	s_or_b64 s[6:7], s[6:7], s[44:45]
	s_xor_b64 s[6:7], s[6:7], -1
	s_and_saveexec_b64 s[46:47], s[6:7]
	s_cbranch_execz .LBB1_78
; %bb.73:                               ;   in Loop: Header=BB1_3 Depth=1
	v_add_u32_e32 v8, -1, v2
	v_cvt_f32_u32_e32 v7, v8
	v_sub_f32_e32 v9, v3, v7
	v_cmp_lt_f32_e64 s[6:7], |v9|, 1.0
	s_and_b64 exec, exec, s[6:7]
	s_cbranch_execz .LBB1_78
; %bb.74:                               ;   in Loop: Header=BB1_3 Depth=1
	s_or_b64 s[6:7], vcc, s[40:41]
	s_or_b64 s[6:7], s[6:7], s[0:1]
	s_xor_b64 s[6:7], s[6:7], -1
	v_mov_b32_e32 v10, 0
	s_and_saveexec_b64 s[48:49], s[6:7]
	s_cbranch_execz .LBB1_76
; %bb.75:                               ;   in Loop: Header=BB1_3 Depth=1
	v_cvt_f32_u32_e32 v9, v2
	v_cmp_eq_u32_e64 s[6:7], v8, v26
	v_cmp_eq_u32_e64 s[8:9], v27, v8
	s_and_b64 s[10:11], s[2:3], s[6:7]
	v_sub_f32_e32 v8, v9, v3
	v_mul_f32_e32 v9, v13, v8
	v_sub_f32_e32 v7, v25, v7
	v_cndmask_b32_e64 v9, 0, v9, s[10:11]
	v_mul_f32_e32 v10, v13, v7
	s_and_b64 s[10:11], s[2:3], s[8:9]
	v_cndmask_b32_e64 v9, v9, v10, s[10:11]
	v_mul_f32_e32 v8, v12, v8
	s_and_b64 s[6:7], s[4:5], s[6:7]
	;; [unrolled: 3-line block ×3, first 2 shown]
	v_cndmask_b32_e64 v10, v8, v7, s[6:7]
.LBB1_76:                               ;   in Loop: Header=BB1_3 Depth=1
	s_or_b64 exec, exec, s[48:49]
	v_ashrrev_i32_e32 v7, 31, v6
	v_lshlrev_b64 v[8:9], 2, v[6:7]
	v_mov_b32_e32 v7, s67
	v_add_co_u32_e64 v8, s[6:7], s66, v8
	v_addc_co_u32_e64 v9, s[6:7], v7, v9, s[6:7]
	global_load_dword v11, v[8:9], off
	v_mul_f32_e32 v7, v1, v10
	s_mov_b64 s[8:9], 0
.LBB1_77:                               ;   Parent Loop BB1_3 Depth=1
                                        ; =>  This Inner Loop Header: Depth=2
	s_waitcnt vmcnt(0)
	v_add_f32_e32 v10, v11, v7
	global_atomic_cmpswap v10, v[8:9], v[10:11], off glc
	s_waitcnt vmcnt(0)
	v_cmp_eq_u32_e64 s[6:7], v10, v11
	s_or_b64 s[8:9], s[6:7], s[8:9]
	v_mov_b32_e32 v11, v10
	s_andn2_b64 exec, exec, s[8:9]
	s_cbranch_execnz .LBB1_77
.LBB1_78:                               ;   in Loop: Header=BB1_3 Depth=1
	s_or_b64 exec, exec, s[46:47]
	v_cmp_gt_i32_e64 s[6:7], 0, v2
	v_cmp_le_i32_e64 s[8:9], s14, v2
	s_or_b64 s[6:7], s[6:7], s[8:9]
	s_or_b64 s[6:7], s[6:7], s[44:45]
	s_xor_b64 s[6:7], s[6:7], -1
	s_and_saveexec_b64 s[46:47], s[6:7]
	s_cbranch_execz .LBB1_84
; %bb.79:                               ;   in Loop: Header=BB1_3 Depth=1
	v_cvt_f32_u32_e32 v7, v2
	v_sub_f32_e32 v8, v3, v7
	v_cmp_lt_f32_e64 s[6:7], |v8|, 1.0
	s_and_b64 exec, exec, s[6:7]
	s_cbranch_execz .LBB1_84
; %bb.80:                               ;   in Loop: Header=BB1_3 Depth=1
	s_or_b64 s[6:7], vcc, s[40:41]
	s_or_b64 s[6:7], s[6:7], s[0:1]
	s_xor_b64 s[6:7], s[6:7], -1
	v_mov_b32_e32 v10, 0
	s_and_saveexec_b64 s[48:49], s[6:7]
	s_cbranch_execz .LBB1_82
; %bb.81:                               ;   in Loop: Header=BB1_3 Depth=1
	v_add_u32_e32 v8, 1, v2
	v_cvt_f32_u32_e32 v8, v8
	v_cmp_eq_u32_e64 s[6:7], v2, v26
	v_cmp_eq_u32_e64 s[8:9], v27, v2
	s_and_b64 s[10:11], s[2:3], s[6:7]
	v_sub_f32_e32 v8, v8, v3
	v_mul_f32_e32 v9, v13, v8
	v_sub_f32_e32 v7, v25, v7
	v_cndmask_b32_e64 v9, 0, v9, s[10:11]
	v_mul_f32_e32 v10, v13, v7
	s_and_b64 s[10:11], s[2:3], s[8:9]
	v_cndmask_b32_e64 v9, v9, v10, s[10:11]
	v_mul_f32_e32 v8, v12, v8
	s_and_b64 s[6:7], s[4:5], s[6:7]
	;; [unrolled: 3-line block ×3, first 2 shown]
	v_cndmask_b32_e64 v10, v8, v7, s[6:7]
.LBB1_82:                               ;   in Loop: Header=BB1_3 Depth=1
	s_or_b64 exec, exec, s[48:49]
	v_ashrrev_i32_e32 v7, 31, v6
	v_lshlrev_b64 v[8:9], 2, v[6:7]
	v_mov_b32_e32 v7, s37
	v_add_co_u32_e64 v8, s[6:7], s36, v8
	v_addc_co_u32_e64 v9, s[6:7], v7, v9, s[6:7]
	global_load_dword v11, v[8:9], off
	v_mul_f32_e32 v7, v1, v10
	s_mov_b64 s[8:9], 0
.LBB1_83:                               ;   Parent Loop BB1_3 Depth=1
                                        ; =>  This Inner Loop Header: Depth=2
	s_waitcnt vmcnt(0)
	v_add_f32_e32 v10, v11, v7
	global_atomic_cmpswap v10, v[8:9], v[10:11], off glc
	s_waitcnt vmcnt(0)
	v_cmp_eq_u32_e64 s[6:7], v10, v11
	s_or_b64 s[8:9], s[6:7], s[8:9]
	v_mov_b32_e32 v11, v10
	s_andn2_b64 exec, exec, s[8:9]
	s_cbranch_execnz .LBB1_83
.LBB1_84:                               ;   in Loop: Header=BB1_3 Depth=1
	s_or_b64 exec, exec, s[46:47]
	v_add_u32_e32 v7, 1, v2
	v_cmp_gt_i32_e64 s[6:7], -1, v2
	v_cmp_le_i32_e64 s[8:9], s14, v7
	s_or_b64 s[6:7], s[6:7], s[8:9]
	s_or_b64 s[6:7], s[6:7], s[44:45]
	s_xor_b64 s[6:7], s[6:7], -1
	s_and_saveexec_b64 s[46:47], s[6:7]
	s_cbranch_execz .LBB1_90
; %bb.85:                               ;   in Loop: Header=BB1_3 Depth=1
	v_cvt_f32_u32_e32 v8, v7
	v_sub_f32_e32 v9, v3, v8
	v_cmp_lt_f32_e64 s[6:7], |v9|, 1.0
	s_and_b64 exec, exec, s[6:7]
	s_cbranch_execz .LBB1_90
; %bb.86:                               ;   in Loop: Header=BB1_3 Depth=1
	s_or_b64 s[6:7], vcc, s[40:41]
	s_or_b64 s[6:7], s[6:7], s[0:1]
	s_xor_b64 s[6:7], s[6:7], -1
	v_mov_b32_e32 v10, 0
	s_and_saveexec_b64 s[48:49], s[6:7]
	s_cbranch_execz .LBB1_88
; %bb.87:                               ;   in Loop: Header=BB1_3 Depth=1
	v_add_u32_e32 v9, 2, v2
	v_cvt_f32_u32_e32 v9, v9
	v_cmp_eq_u32_e64 s[6:7], v7, v26
	v_cmp_eq_u32_e64 s[8:9], v26, v2
	s_and_b64 s[10:11], s[2:3], s[6:7]
	v_sub_f32_e32 v7, v9, v3
	v_mul_f32_e32 v9, v13, v7
	v_sub_f32_e32 v8, v25, v8
	v_cndmask_b32_e64 v9, 0, v9, s[10:11]
	v_mul_f32_e32 v10, v13, v8
	s_and_b64 s[10:11], s[2:3], s[8:9]
	v_cndmask_b32_e64 v9, v9, v10, s[10:11]
	v_mul_f32_e32 v7, v12, v7
	s_and_b64 s[6:7], s[4:5], s[6:7]
	;; [unrolled: 3-line block ×3, first 2 shown]
	v_cndmask_b32_e64 v10, v7, v8, s[6:7]
.LBB1_88:                               ;   in Loop: Header=BB1_3 Depth=1
	s_or_b64 exec, exec, s[48:49]
	v_ashrrev_i32_e32 v7, 31, v6
	v_lshlrev_b64 v[8:9], 2, v[6:7]
	v_mov_b32_e32 v7, s69
	v_add_co_u32_e64 v8, s[6:7], s68, v8
	v_addc_co_u32_e64 v9, s[6:7], v7, v9, s[6:7]
	global_load_dword v11, v[8:9], off
	v_mul_f32_e32 v7, v1, v10
	s_mov_b64 s[8:9], 0
.LBB1_89:                               ;   Parent Loop BB1_3 Depth=1
                                        ; =>  This Inner Loop Header: Depth=2
	s_waitcnt vmcnt(0)
	v_add_f32_e32 v10, v11, v7
	global_atomic_cmpswap v10, v[8:9], v[10:11], off glc
	s_waitcnt vmcnt(0)
	v_cmp_eq_u32_e64 s[6:7], v10, v11
	s_or_b64 s[8:9], s[6:7], s[8:9]
	v_mov_b32_e32 v11, v10
	s_andn2_b64 exec, exec, s[8:9]
	s_cbranch_execnz .LBB1_89
.LBB1_90:                               ;   in Loop: Header=BB1_3 Depth=1
	s_or_b64 exec, exec, s[46:47]
	v_add_u32_e32 v7, 2, v2
	v_cmp_gt_i32_e64 s[6:7], -2, v2
	v_cmp_le_i32_e64 s[8:9], s14, v7
	s_or_b64 s[6:7], s[6:7], s[8:9]
	s_or_b64 s[6:7], s[6:7], s[44:45]
	s_xor_b64 s[6:7], s[6:7], -1
	s_and_b64 exec, exec, s[6:7]
	s_cbranch_execz .LBB1_96
; %bb.91:                               ;   in Loop: Header=BB1_3 Depth=1
	v_cvt_f32_u32_e32 v8, v7
	v_sub_f32_e32 v9, v3, v8
	v_cmp_lt_f32_e64 s[6:7], |v9|, 1.0
	s_and_b64 exec, exec, s[6:7]
	s_cbranch_execz .LBB1_96
; %bb.92:                               ;   in Loop: Header=BB1_3 Depth=1
	s_or_b64 s[6:7], vcc, s[40:41]
	s_or_b64 s[6:7], s[6:7], s[0:1]
	s_xor_b64 s[6:7], s[6:7], -1
	v_mov_b32_e32 v10, 0
	s_and_saveexec_b64 s[44:45], s[6:7]
	s_cbranch_execz .LBB1_94
; %bb.93:                               ;   in Loop: Header=BB1_3 Depth=1
	v_add_u32_e32 v9, 3, v2
	v_cvt_f32_u32_e32 v9, v9
	v_cmp_eq_u32_e64 s[6:7], v7, v26
	v_cmp_eq_u32_e64 s[8:9], v27, v7
	s_and_b64 s[10:11], s[2:3], s[6:7]
	v_sub_f32_e32 v7, v9, v3
	v_mul_f32_e32 v9, v13, v7
	v_sub_f32_e32 v8, v25, v8
	v_cndmask_b32_e64 v9, 0, v9, s[10:11]
	v_mul_f32_e32 v10, v13, v8
	s_and_b64 s[10:11], s[2:3], s[8:9]
	v_cndmask_b32_e64 v9, v9, v10, s[10:11]
	v_mul_f32_e32 v7, v12, v7
	s_and_b64 s[6:7], s[4:5], s[6:7]
	;; [unrolled: 3-line block ×3, first 2 shown]
	v_cndmask_b32_e64 v10, v7, v8, s[4:5]
.LBB1_94:                               ;   in Loop: Header=BB1_3 Depth=1
	s_or_b64 exec, exec, s[44:45]
	v_ashrrev_i32_e32 v7, 31, v6
	v_lshlrev_b64 v[8:9], 2, v[6:7]
	v_mov_b32_e32 v7, s71
	v_add_co_u32_e64 v8, s[4:5], s70, v8
	v_addc_co_u32_e64 v9, s[4:5], v7, v9, s[4:5]
	global_load_dword v11, v[8:9], off
	v_mul_f32_e32 v7, v1, v10
	s_mov_b64 s[6:7], 0
.LBB1_95:                               ;   Parent Loop BB1_3 Depth=1
                                        ; =>  This Inner Loop Header: Depth=2
	s_waitcnt vmcnt(0)
	v_add_f32_e32 v10, v11, v7
	global_atomic_cmpswap v10, v[8:9], v[10:11], off glc
	s_waitcnt vmcnt(0)
	v_cmp_eq_u32_e64 s[4:5], v10, v11
	s_or_b64 s[6:7], s[4:5], s[6:7]
	v_mov_b32_e32 v11, v10
	s_andn2_b64 exec, exec, s[6:7]
	s_cbranch_execnz .LBB1_95
.LBB1_96:                               ;   in Loop: Header=BB1_3 Depth=1
	s_or_b64 exec, exec, s[42:43]
	v_add_u32_e32 v12, 2, v4
	v_cvt_f32_u32_e32 v13, v12
	v_cmp_lt_i32_e64 s[4:5], -2, v4
	v_cmp_gt_i32_e64 s[6:7], s13, v34
	s_and_b64 s[4:5], s[4:5], s[6:7]
	v_add_u32_e32 v6, s14, v6
	s_and_saveexec_b64 s[42:43], s[4:5]
	s_cbranch_execz .LBB1_127
; %bb.97:                               ;   in Loop: Header=BB1_3 Depth=1
	v_sub_f32_e32 v7, v28, v32
	v_cmp_gt_i32_e64 s[6:7], 2, v2
	v_cmp_le_i32_e64 s[8:9], s14, v5
	v_cmp_nlt_f32_e64 s[44:45], |v7|, 1.0
	s_or_b64 s[6:7], s[6:7], s[8:9]
	s_or_b64 s[6:7], s[6:7], s[44:45]
	v_cmp_eq_u32_e64 s[4:5], v34, v29
	v_sub_f32_e32 v33, v13, v28
	v_sub_f32_e32 v32, v31, v32
	s_xor_b64 s[6:7], s[6:7], -1
	s_and_saveexec_b64 s[46:47], s[6:7]
	s_cbranch_execz .LBB1_103
; %bb.98:                               ;   in Loop: Header=BB1_3 Depth=1
	v_cvt_f32_u32_e32 v7, v5
	v_sub_f32_e32 v8, v3, v7
	v_cmp_lt_f32_e64 s[6:7], |v8|, 1.0
	s_and_b64 exec, exec, s[6:7]
	s_cbranch_execz .LBB1_103
; %bb.99:                               ;   in Loop: Header=BB1_3 Depth=1
	s_or_b64 s[6:7], vcc, s[40:41]
	s_or_b64 s[6:7], s[6:7], s[0:1]
	s_xor_b64 s[6:7], s[6:7], -1
	v_mov_b32_e32 v10, 0
	s_and_saveexec_b64 s[48:49], s[6:7]
	s_cbranch_execz .LBB1_101
; %bb.100:                              ;   in Loop: Header=BB1_3 Depth=1
	v_add_u32_e32 v8, -1, v2
	v_cvt_f32_u32_e32 v8, v8
	v_cmp_eq_u32_e64 s[6:7], v5, v26
	v_cmp_eq_u32_e64 s[8:9], v27, v5
	s_and_b64 s[10:11], s[4:5], s[6:7]
	v_sub_f32_e32 v8, v8, v3
	v_mul_f32_e32 v9, v33, v8
	v_sub_f32_e32 v7, v25, v7
	v_cndmask_b32_e64 v9, 0, v9, s[10:11]
	v_mul_f32_e32 v10, v33, v7
	s_and_b64 s[10:11], s[4:5], s[8:9]
	v_cndmask_b32_e64 v9, v9, v10, s[10:11]
	v_mul_f32_e32 v8, v32, v8
	s_and_b64 s[6:7], s[2:3], s[6:7]
	;; [unrolled: 3-line block ×3, first 2 shown]
	v_cndmask_b32_e64 v10, v8, v7, s[6:7]
.LBB1_101:                              ;   in Loop: Header=BB1_3 Depth=1
	s_or_b64 exec, exec, s[48:49]
	v_ashrrev_i32_e32 v7, 31, v6
	v_lshlrev_b64 v[8:9], 2, v[6:7]
	v_mov_b32_e32 v7, s65
	v_add_co_u32_e64 v8, s[6:7], s64, v8
	v_addc_co_u32_e64 v9, s[6:7], v7, v9, s[6:7]
	global_load_dword v11, v[8:9], off
	v_mul_f32_e32 v7, v1, v10
	s_mov_b64 s[8:9], 0
.LBB1_102:                              ;   Parent Loop BB1_3 Depth=1
                                        ; =>  This Inner Loop Header: Depth=2
	s_waitcnt vmcnt(0)
	v_add_f32_e32 v10, v11, v7
	global_atomic_cmpswap v10, v[8:9], v[10:11], off glc
	s_waitcnt vmcnt(0)
	v_cmp_eq_u32_e64 s[6:7], v10, v11
	s_or_b64 s[8:9], s[6:7], s[8:9]
	v_mov_b32_e32 v11, v10
	s_andn2_b64 exec, exec, s[8:9]
	s_cbranch_execnz .LBB1_102
.LBB1_103:                              ;   in Loop: Header=BB1_3 Depth=1
	s_or_b64 exec, exec, s[46:47]
	v_cmp_gt_i32_e64 s[6:7], 1, v2
	v_cmp_lt_i32_e64 s[8:9], s14, v2
	s_or_b64 s[6:7], s[6:7], s[8:9]
	s_or_b64 s[6:7], s[6:7], s[44:45]
	s_xor_b64 s[6:7], s[6:7], -1
	s_and_saveexec_b64 s[46:47], s[6:7]
	s_cbranch_execz .LBB1_109
; %bb.104:                              ;   in Loop: Header=BB1_3 Depth=1
	v_add_u32_e32 v8, -1, v2
	v_cvt_f32_u32_e32 v7, v8
	v_sub_f32_e32 v9, v3, v7
	v_cmp_lt_f32_e64 s[6:7], |v9|, 1.0
	s_and_b64 exec, exec, s[6:7]
	s_cbranch_execz .LBB1_109
; %bb.105:                              ;   in Loop: Header=BB1_3 Depth=1
	s_or_b64 s[6:7], vcc, s[40:41]
	s_or_b64 s[6:7], s[6:7], s[0:1]
	s_xor_b64 s[6:7], s[6:7], -1
	v_mov_b32_e32 v10, 0
	s_and_saveexec_b64 s[48:49], s[6:7]
	s_cbranch_execz .LBB1_107
; %bb.106:                              ;   in Loop: Header=BB1_3 Depth=1
	v_cvt_f32_u32_e32 v9, v2
	v_cmp_eq_u32_e64 s[6:7], v8, v26
	v_cmp_eq_u32_e64 s[8:9], v27, v8
	s_and_b64 s[10:11], s[4:5], s[6:7]
	v_sub_f32_e32 v8, v9, v3
	v_mul_f32_e32 v9, v33, v8
	v_sub_f32_e32 v7, v25, v7
	v_cndmask_b32_e64 v9, 0, v9, s[10:11]
	v_mul_f32_e32 v10, v33, v7
	s_and_b64 s[10:11], s[4:5], s[8:9]
	v_cndmask_b32_e64 v9, v9, v10, s[10:11]
	v_mul_f32_e32 v8, v32, v8
	s_and_b64 s[6:7], s[2:3], s[6:7]
	;; [unrolled: 3-line block ×3, first 2 shown]
	v_cndmask_b32_e64 v10, v8, v7, s[6:7]
.LBB1_107:                              ;   in Loop: Header=BB1_3 Depth=1
	s_or_b64 exec, exec, s[48:49]
	v_ashrrev_i32_e32 v7, 31, v6
	v_lshlrev_b64 v[8:9], 2, v[6:7]
	v_mov_b32_e32 v7, s67
	v_add_co_u32_e64 v8, s[6:7], s66, v8
	v_addc_co_u32_e64 v9, s[6:7], v7, v9, s[6:7]
	global_load_dword v11, v[8:9], off
	v_mul_f32_e32 v7, v1, v10
	s_mov_b64 s[8:9], 0
.LBB1_108:                              ;   Parent Loop BB1_3 Depth=1
                                        ; =>  This Inner Loop Header: Depth=2
	s_waitcnt vmcnt(0)
	v_add_f32_e32 v10, v11, v7
	global_atomic_cmpswap v10, v[8:9], v[10:11], off glc
	s_waitcnt vmcnt(0)
	v_cmp_eq_u32_e64 s[6:7], v10, v11
	s_or_b64 s[8:9], s[6:7], s[8:9]
	v_mov_b32_e32 v11, v10
	s_andn2_b64 exec, exec, s[8:9]
	s_cbranch_execnz .LBB1_108
.LBB1_109:                              ;   in Loop: Header=BB1_3 Depth=1
	s_or_b64 exec, exec, s[46:47]
	v_cmp_gt_i32_e64 s[6:7], 0, v2
	v_cmp_le_i32_e64 s[8:9], s14, v2
	s_or_b64 s[6:7], s[6:7], s[8:9]
	s_or_b64 s[6:7], s[6:7], s[44:45]
	s_xor_b64 s[6:7], s[6:7], -1
	s_and_saveexec_b64 s[46:47], s[6:7]
	s_cbranch_execz .LBB1_115
; %bb.110:                              ;   in Loop: Header=BB1_3 Depth=1
	v_cvt_f32_u32_e32 v7, v2
	v_sub_f32_e32 v8, v3, v7
	v_cmp_lt_f32_e64 s[6:7], |v8|, 1.0
	s_and_b64 exec, exec, s[6:7]
	s_cbranch_execz .LBB1_115
; %bb.111:                              ;   in Loop: Header=BB1_3 Depth=1
	s_or_b64 s[6:7], vcc, s[40:41]
	s_or_b64 s[6:7], s[6:7], s[0:1]
	s_xor_b64 s[6:7], s[6:7], -1
	v_mov_b32_e32 v10, 0
	s_and_saveexec_b64 s[48:49], s[6:7]
	s_cbranch_execz .LBB1_113
; %bb.112:                              ;   in Loop: Header=BB1_3 Depth=1
	v_add_u32_e32 v8, 1, v2
	v_cvt_f32_u32_e32 v8, v8
	v_cmp_eq_u32_e64 s[6:7], v2, v26
	v_cmp_eq_u32_e64 s[8:9], v27, v2
	s_and_b64 s[10:11], s[4:5], s[6:7]
	v_sub_f32_e32 v8, v8, v3
	v_mul_f32_e32 v9, v33, v8
	v_sub_f32_e32 v7, v25, v7
	v_cndmask_b32_e64 v9, 0, v9, s[10:11]
	v_mul_f32_e32 v10, v33, v7
	s_and_b64 s[10:11], s[4:5], s[8:9]
	v_cndmask_b32_e64 v9, v9, v10, s[10:11]
	v_mul_f32_e32 v8, v32, v8
	s_and_b64 s[6:7], s[2:3], s[6:7]
	;; [unrolled: 3-line block ×3, first 2 shown]
	v_cndmask_b32_e64 v10, v8, v7, s[6:7]
.LBB1_113:                              ;   in Loop: Header=BB1_3 Depth=1
	s_or_b64 exec, exec, s[48:49]
	v_ashrrev_i32_e32 v7, 31, v6
	v_lshlrev_b64 v[8:9], 2, v[6:7]
	v_mov_b32_e32 v7, s37
	v_add_co_u32_e64 v8, s[6:7], s36, v8
	v_addc_co_u32_e64 v9, s[6:7], v7, v9, s[6:7]
	global_load_dword v11, v[8:9], off
	v_mul_f32_e32 v7, v1, v10
	s_mov_b64 s[8:9], 0
.LBB1_114:                              ;   Parent Loop BB1_3 Depth=1
                                        ; =>  This Inner Loop Header: Depth=2
	s_waitcnt vmcnt(0)
	v_add_f32_e32 v10, v11, v7
	global_atomic_cmpswap v10, v[8:9], v[10:11], off glc
	s_waitcnt vmcnt(0)
	v_cmp_eq_u32_e64 s[6:7], v10, v11
	s_or_b64 s[8:9], s[6:7], s[8:9]
	v_mov_b32_e32 v11, v10
	s_andn2_b64 exec, exec, s[8:9]
	s_cbranch_execnz .LBB1_114
.LBB1_115:                              ;   in Loop: Header=BB1_3 Depth=1
	s_or_b64 exec, exec, s[46:47]
	v_add_u32_e32 v7, 1, v2
	v_cmp_gt_i32_e64 s[6:7], -1, v2
	v_cmp_le_i32_e64 s[8:9], s14, v7
	s_or_b64 s[6:7], s[6:7], s[8:9]
	s_or_b64 s[6:7], s[6:7], s[44:45]
	s_xor_b64 s[6:7], s[6:7], -1
	s_and_saveexec_b64 s[46:47], s[6:7]
	s_cbranch_execz .LBB1_121
; %bb.116:                              ;   in Loop: Header=BB1_3 Depth=1
	v_cvt_f32_u32_e32 v8, v7
	v_sub_f32_e32 v9, v3, v8
	v_cmp_lt_f32_e64 s[6:7], |v9|, 1.0
	s_and_b64 exec, exec, s[6:7]
	s_cbranch_execz .LBB1_121
; %bb.117:                              ;   in Loop: Header=BB1_3 Depth=1
	s_or_b64 s[6:7], vcc, s[40:41]
	s_or_b64 s[6:7], s[6:7], s[0:1]
	s_xor_b64 s[6:7], s[6:7], -1
	v_mov_b32_e32 v10, 0
	s_and_saveexec_b64 s[48:49], s[6:7]
	s_cbranch_execz .LBB1_119
; %bb.118:                              ;   in Loop: Header=BB1_3 Depth=1
	v_add_u32_e32 v9, 2, v2
	v_cvt_f32_u32_e32 v9, v9
	v_cmp_eq_u32_e64 s[6:7], v7, v26
	v_cmp_eq_u32_e64 s[8:9], v26, v2
	s_and_b64 s[10:11], s[4:5], s[6:7]
	v_sub_f32_e32 v7, v9, v3
	v_mul_f32_e32 v9, v33, v7
	v_sub_f32_e32 v8, v25, v8
	v_cndmask_b32_e64 v9, 0, v9, s[10:11]
	v_mul_f32_e32 v10, v33, v8
	s_and_b64 s[10:11], s[4:5], s[8:9]
	v_cndmask_b32_e64 v9, v9, v10, s[10:11]
	v_mul_f32_e32 v7, v32, v7
	s_and_b64 s[6:7], s[2:3], s[6:7]
	;; [unrolled: 3-line block ×3, first 2 shown]
	v_cndmask_b32_e64 v10, v7, v8, s[6:7]
.LBB1_119:                              ;   in Loop: Header=BB1_3 Depth=1
	s_or_b64 exec, exec, s[48:49]
	v_ashrrev_i32_e32 v7, 31, v6
	v_lshlrev_b64 v[8:9], 2, v[6:7]
	v_mov_b32_e32 v7, s69
	v_add_co_u32_e64 v8, s[6:7], s68, v8
	v_addc_co_u32_e64 v9, s[6:7], v7, v9, s[6:7]
	global_load_dword v11, v[8:9], off
	v_mul_f32_e32 v7, v1, v10
	s_mov_b64 s[8:9], 0
.LBB1_120:                              ;   Parent Loop BB1_3 Depth=1
                                        ; =>  This Inner Loop Header: Depth=2
	s_waitcnt vmcnt(0)
	v_add_f32_e32 v10, v11, v7
	global_atomic_cmpswap v10, v[8:9], v[10:11], off glc
	s_waitcnt vmcnt(0)
	v_cmp_eq_u32_e64 s[6:7], v10, v11
	s_or_b64 s[8:9], s[6:7], s[8:9]
	v_mov_b32_e32 v11, v10
	s_andn2_b64 exec, exec, s[8:9]
	s_cbranch_execnz .LBB1_120
.LBB1_121:                              ;   in Loop: Header=BB1_3 Depth=1
	s_or_b64 exec, exec, s[46:47]
	v_add_u32_e32 v7, 2, v2
	v_cmp_gt_i32_e64 s[6:7], -2, v2
	v_cmp_le_i32_e64 s[8:9], s14, v7
	s_or_b64 s[6:7], s[6:7], s[8:9]
	s_or_b64 s[6:7], s[6:7], s[44:45]
	s_xor_b64 s[6:7], s[6:7], -1
	s_and_b64 exec, exec, s[6:7]
	s_cbranch_execz .LBB1_127
; %bb.122:                              ;   in Loop: Header=BB1_3 Depth=1
	v_cvt_f32_u32_e32 v8, v7
	v_sub_f32_e32 v9, v3, v8
	v_cmp_lt_f32_e64 s[6:7], |v9|, 1.0
	s_and_b64 exec, exec, s[6:7]
	s_cbranch_execz .LBB1_127
; %bb.123:                              ;   in Loop: Header=BB1_3 Depth=1
	s_or_b64 s[6:7], vcc, s[40:41]
	s_or_b64 s[6:7], s[6:7], s[0:1]
	s_xor_b64 s[6:7], s[6:7], -1
	v_mov_b32_e32 v10, 0
	s_and_saveexec_b64 s[44:45], s[6:7]
	s_cbranch_execz .LBB1_125
; %bb.124:                              ;   in Loop: Header=BB1_3 Depth=1
	v_add_u32_e32 v9, 3, v2
	v_cvt_f32_u32_e32 v9, v9
	v_cmp_eq_u32_e64 s[6:7], v7, v26
	v_cmp_eq_u32_e64 s[8:9], v27, v7
	s_and_b64 s[10:11], s[4:5], s[6:7]
	v_sub_f32_e32 v7, v9, v3
	v_mul_f32_e32 v9, v33, v7
	v_sub_f32_e32 v8, v25, v8
	v_cndmask_b32_e64 v9, 0, v9, s[10:11]
	v_mul_f32_e32 v10, v33, v8
	s_and_b64 s[4:5], s[4:5], s[8:9]
	v_cndmask_b32_e64 v9, v9, v10, s[4:5]
	v_mul_f32_e32 v7, v32, v7
	s_and_b64 s[4:5], s[2:3], s[6:7]
	v_cndmask_b32_e64 v7, v9, v7, s[4:5]
	v_mul_f32_e32 v8, v32, v8
	s_and_b64 s[2:3], s[2:3], s[8:9]
	v_cndmask_b32_e64 v10, v7, v8, s[2:3]
.LBB1_125:                              ;   in Loop: Header=BB1_3 Depth=1
	s_or_b64 exec, exec, s[44:45]
	v_ashrrev_i32_e32 v7, 31, v6
	v_lshlrev_b64 v[8:9], 2, v[6:7]
	v_mov_b32_e32 v7, s71
	v_add_co_u32_e64 v8, s[2:3], s70, v8
	v_addc_co_u32_e64 v9, s[2:3], v7, v9, s[2:3]
	global_load_dword v11, v[8:9], off
	v_mul_f32_e32 v7, v1, v10
	s_mov_b64 s[4:5], 0
.LBB1_126:                              ;   Parent Loop BB1_3 Depth=1
                                        ; =>  This Inner Loop Header: Depth=2
	s_waitcnt vmcnt(0)
	v_add_f32_e32 v10, v11, v7
	global_atomic_cmpswap v10, v[8:9], v[10:11], off glc
	s_waitcnt vmcnt(0)
	v_cmp_eq_u32_e64 s[2:3], v10, v11
	s_or_b64 s[4:5], s[2:3], s[4:5]
	v_mov_b32_e32 v11, v10
	s_andn2_b64 exec, exec, s[4:5]
	s_cbranch_execnz .LBB1_126
.LBB1_127:                              ;   in Loop: Header=BB1_3 Depth=1
	s_or_b64 exec, exec, s[42:43]
	v_cmp_lt_i32_e64 s[2:3], -3, v4
	v_cmp_gt_i32_e64 s[4:5], s13, v12
	s_and_b64 s[2:3], s[2:3], s[4:5]
	s_and_saveexec_b64 s[42:43], s[2:3]
	s_cbranch_execz .LBB1_2
; %bb.128:                              ;   in Loop: Header=BB1_3 Depth=1
	v_add_u32_e32 v4, 3, v4
	v_cvt_f32_u32_e32 v8, v4
	v_sub_f32_e32 v7, v28, v13
	v_cmp_gt_i32_e64 s[6:7], 2, v2
	v_cmp_le_i32_e64 s[8:9], s14, v5
	v_cmp_nlt_f32_e64 s[44:45], |v7|, 1.0
	s_or_b64 s[6:7], s[6:7], s[8:9]
	s_or_b64 s[6:7], s[6:7], s[44:45]
	v_add_u32_e32 v4, s14, v6
	v_cmp_eq_u32_e64 s[4:5], v12, v29
	v_sub_f32_e32 v11, v8, v28
	v_cmp_eq_u32_e64 s[2:3], v30, v12
	v_sub_f32_e32 v10, v31, v13
	s_xor_b64 s[6:7], s[6:7], -1
	s_and_saveexec_b64 s[46:47], s[6:7]
	s_cbranch_execz .LBB1_134
; %bb.129:                              ;   in Loop: Header=BB1_3 Depth=1
	v_cvt_f32_u32_e32 v6, v5
	v_sub_f32_e32 v7, v3, v6
	v_cmp_lt_f32_e64 s[6:7], |v7|, 1.0
	s_and_b64 exec, exec, s[6:7]
	s_cbranch_execz .LBB1_134
; %bb.130:                              ;   in Loop: Header=BB1_3 Depth=1
	s_or_b64 s[6:7], vcc, s[40:41]
	s_or_b64 s[6:7], s[6:7], s[0:1]
	s_xor_b64 s[6:7], s[6:7], -1
	v_mov_b32_e32 v8, 0
	s_and_saveexec_b64 s[48:49], s[6:7]
	s_cbranch_execz .LBB1_132
; %bb.131:                              ;   in Loop: Header=BB1_3 Depth=1
	v_add_u32_e32 v7, -1, v2
	v_cvt_f32_u32_e32 v7, v7
	v_cmp_eq_u32_e64 s[6:7], v5, v26
	v_cmp_eq_u32_e64 s[8:9], v27, v5
	s_and_b64 s[10:11], s[4:5], s[6:7]
	v_sub_f32_e32 v5, v7, v3
	v_mul_f32_e32 v7, v11, v5
	v_sub_f32_e32 v6, v25, v6
	v_cndmask_b32_e64 v7, 0, v7, s[10:11]
	v_mul_f32_e32 v8, v11, v6
	s_and_b64 s[10:11], s[4:5], s[8:9]
	v_cndmask_b32_e64 v7, v7, v8, s[10:11]
	v_mul_f32_e32 v5, v10, v5
	s_and_b64 s[6:7], s[2:3], s[6:7]
	v_cndmask_b32_e64 v5, v7, v5, s[6:7]
	v_mul_f32_e32 v6, v10, v6
	s_and_b64 s[6:7], s[2:3], s[8:9]
	v_cndmask_b32_e64 v8, v5, v6, s[6:7]
.LBB1_132:                              ;   in Loop: Header=BB1_3 Depth=1
	s_or_b64 exec, exec, s[48:49]
	v_ashrrev_i32_e32 v5, 31, v4
	v_lshlrev_b64 v[6:7], 2, v[4:5]
	v_mov_b32_e32 v5, s65
	v_add_co_u32_e64 v6, s[6:7], s64, v6
	v_addc_co_u32_e64 v7, s[6:7], v5, v7, s[6:7]
	global_load_dword v9, v[6:7], off
	v_mul_f32_e32 v5, v1, v8
	s_mov_b64 s[8:9], 0
.LBB1_133:                              ;   Parent Loop BB1_3 Depth=1
                                        ; =>  This Inner Loop Header: Depth=2
	s_waitcnt vmcnt(0)
	v_add_f32_e32 v8, v9, v5
	global_atomic_cmpswap v8, v[6:7], v[8:9], off glc
	s_waitcnt vmcnt(0)
	v_cmp_eq_u32_e64 s[6:7], v8, v9
	s_or_b64 s[8:9], s[6:7], s[8:9]
	v_mov_b32_e32 v9, v8
	s_andn2_b64 exec, exec, s[8:9]
	s_cbranch_execnz .LBB1_133
.LBB1_134:                              ;   in Loop: Header=BB1_3 Depth=1
	s_or_b64 exec, exec, s[46:47]
	v_cmp_gt_i32_e64 s[6:7], 1, v2
	v_cmp_lt_i32_e64 s[8:9], s14, v2
	s_or_b64 s[6:7], s[6:7], s[8:9]
	s_or_b64 s[6:7], s[6:7], s[44:45]
	s_xor_b64 s[6:7], s[6:7], -1
	s_and_saveexec_b64 s[46:47], s[6:7]
	s_cbranch_execz .LBB1_140
; %bb.135:                              ;   in Loop: Header=BB1_3 Depth=1
	v_add_u32_e32 v6, -1, v2
	v_cvt_f32_u32_e32 v5, v6
	v_sub_f32_e32 v7, v3, v5
	v_cmp_lt_f32_e64 s[6:7], |v7|, 1.0
	s_and_b64 exec, exec, s[6:7]
	s_cbranch_execz .LBB1_140
; %bb.136:                              ;   in Loop: Header=BB1_3 Depth=1
	s_or_b64 s[6:7], vcc, s[40:41]
	s_or_b64 s[6:7], s[6:7], s[0:1]
	s_xor_b64 s[6:7], s[6:7], -1
	v_mov_b32_e32 v8, 0
	s_and_saveexec_b64 s[48:49], s[6:7]
	s_cbranch_execz .LBB1_138
; %bb.137:                              ;   in Loop: Header=BB1_3 Depth=1
	v_cvt_f32_u32_e32 v7, v2
	v_cmp_eq_u32_e64 s[6:7], v6, v26
	v_cmp_eq_u32_e64 s[8:9], v27, v6
	s_and_b64 s[10:11], s[4:5], s[6:7]
	v_sub_f32_e32 v6, v7, v3
	v_mul_f32_e32 v7, v11, v6
	v_sub_f32_e32 v5, v25, v5
	v_cndmask_b32_e64 v7, 0, v7, s[10:11]
	v_mul_f32_e32 v8, v11, v5
	s_and_b64 s[10:11], s[4:5], s[8:9]
	v_cndmask_b32_e64 v7, v7, v8, s[10:11]
	v_mul_f32_e32 v6, v10, v6
	s_and_b64 s[6:7], s[2:3], s[6:7]
	;; [unrolled: 3-line block ×3, first 2 shown]
	v_cndmask_b32_e64 v8, v6, v5, s[6:7]
.LBB1_138:                              ;   in Loop: Header=BB1_3 Depth=1
	s_or_b64 exec, exec, s[48:49]
	v_ashrrev_i32_e32 v5, 31, v4
	v_lshlrev_b64 v[6:7], 2, v[4:5]
	v_mov_b32_e32 v5, s67
	v_add_co_u32_e64 v6, s[6:7], s66, v6
	v_addc_co_u32_e64 v7, s[6:7], v5, v7, s[6:7]
	global_load_dword v9, v[6:7], off
	v_mul_f32_e32 v5, v1, v8
	s_mov_b64 s[8:9], 0
.LBB1_139:                              ;   Parent Loop BB1_3 Depth=1
                                        ; =>  This Inner Loop Header: Depth=2
	s_waitcnt vmcnt(0)
	v_add_f32_e32 v8, v9, v5
	global_atomic_cmpswap v8, v[6:7], v[8:9], off glc
	s_waitcnt vmcnt(0)
	v_cmp_eq_u32_e64 s[6:7], v8, v9
	s_or_b64 s[8:9], s[6:7], s[8:9]
	v_mov_b32_e32 v9, v8
	s_andn2_b64 exec, exec, s[8:9]
	s_cbranch_execnz .LBB1_139
.LBB1_140:                              ;   in Loop: Header=BB1_3 Depth=1
	s_or_b64 exec, exec, s[46:47]
	v_cmp_gt_i32_e64 s[6:7], 0, v2
	v_cmp_le_i32_e64 s[8:9], s14, v2
	s_or_b64 s[6:7], s[6:7], s[8:9]
	s_or_b64 s[6:7], s[6:7], s[44:45]
	s_xor_b64 s[6:7], s[6:7], -1
	s_and_saveexec_b64 s[46:47], s[6:7]
	s_cbranch_execz .LBB1_146
; %bb.141:                              ;   in Loop: Header=BB1_3 Depth=1
	v_cvt_f32_u32_e32 v5, v2
	v_sub_f32_e32 v6, v3, v5
	v_cmp_lt_f32_e64 s[6:7], |v6|, 1.0
	s_and_b64 exec, exec, s[6:7]
	s_cbranch_execz .LBB1_146
; %bb.142:                              ;   in Loop: Header=BB1_3 Depth=1
	s_or_b64 s[6:7], vcc, s[40:41]
	s_or_b64 s[6:7], s[6:7], s[0:1]
	s_xor_b64 s[6:7], s[6:7], -1
	v_mov_b32_e32 v8, 0
	s_and_saveexec_b64 s[48:49], s[6:7]
	s_cbranch_execz .LBB1_144
; %bb.143:                              ;   in Loop: Header=BB1_3 Depth=1
	v_add_u32_e32 v6, 1, v2
	v_cvt_f32_u32_e32 v6, v6
	v_cmp_eq_u32_e64 s[6:7], v2, v26
	v_cmp_eq_u32_e64 s[8:9], v27, v2
	s_and_b64 s[10:11], s[4:5], s[6:7]
	v_sub_f32_e32 v6, v6, v3
	v_mul_f32_e32 v7, v11, v6
	v_sub_f32_e32 v5, v25, v5
	v_cndmask_b32_e64 v7, 0, v7, s[10:11]
	v_mul_f32_e32 v8, v11, v5
	s_and_b64 s[10:11], s[4:5], s[8:9]
	v_cndmask_b32_e64 v7, v7, v8, s[10:11]
	v_mul_f32_e32 v6, v10, v6
	s_and_b64 s[6:7], s[2:3], s[6:7]
	;; [unrolled: 3-line block ×3, first 2 shown]
	v_cndmask_b32_e64 v8, v6, v5, s[6:7]
.LBB1_144:                              ;   in Loop: Header=BB1_3 Depth=1
	s_or_b64 exec, exec, s[48:49]
	v_ashrrev_i32_e32 v5, 31, v4
	v_lshlrev_b64 v[6:7], 2, v[4:5]
	v_mov_b32_e32 v5, s37
	v_add_co_u32_e64 v6, s[6:7], s36, v6
	v_addc_co_u32_e64 v7, s[6:7], v5, v7, s[6:7]
	global_load_dword v9, v[6:7], off
	v_mul_f32_e32 v5, v1, v8
	s_mov_b64 s[8:9], 0
.LBB1_145:                              ;   Parent Loop BB1_3 Depth=1
                                        ; =>  This Inner Loop Header: Depth=2
	s_waitcnt vmcnt(0)
	v_add_f32_e32 v8, v9, v5
	global_atomic_cmpswap v8, v[6:7], v[8:9], off glc
	s_waitcnt vmcnt(0)
	v_cmp_eq_u32_e64 s[6:7], v8, v9
	s_or_b64 s[8:9], s[6:7], s[8:9]
	v_mov_b32_e32 v9, v8
	s_andn2_b64 exec, exec, s[8:9]
	s_cbranch_execnz .LBB1_145
.LBB1_146:                              ;   in Loop: Header=BB1_3 Depth=1
	s_or_b64 exec, exec, s[46:47]
	v_add_u32_e32 v5, 1, v2
	v_cmp_gt_i32_e64 s[6:7], -1, v2
	v_cmp_le_i32_e64 s[8:9], s14, v5
	s_or_b64 s[6:7], s[6:7], s[8:9]
	s_or_b64 s[6:7], s[6:7], s[44:45]
	s_xor_b64 s[6:7], s[6:7], -1
	s_and_saveexec_b64 s[46:47], s[6:7]
	s_cbranch_execz .LBB1_152
; %bb.147:                              ;   in Loop: Header=BB1_3 Depth=1
	v_cvt_f32_u32_e32 v6, v5
	v_sub_f32_e32 v7, v3, v6
	v_cmp_lt_f32_e64 s[6:7], |v7|, 1.0
	s_and_b64 exec, exec, s[6:7]
	s_cbranch_execz .LBB1_152
; %bb.148:                              ;   in Loop: Header=BB1_3 Depth=1
	s_or_b64 s[6:7], vcc, s[40:41]
	s_or_b64 s[6:7], s[6:7], s[0:1]
	s_xor_b64 s[6:7], s[6:7], -1
	v_mov_b32_e32 v8, 0
	s_and_saveexec_b64 s[48:49], s[6:7]
	s_cbranch_execz .LBB1_150
; %bb.149:                              ;   in Loop: Header=BB1_3 Depth=1
	v_add_u32_e32 v7, 2, v2
	v_cvt_f32_u32_e32 v7, v7
	v_cmp_eq_u32_e64 s[6:7], v5, v26
	v_cmp_eq_u32_e64 s[8:9], v26, v2
	s_and_b64 s[10:11], s[4:5], s[6:7]
	v_sub_f32_e32 v5, v7, v3
	v_mul_f32_e32 v7, v11, v5
	v_sub_f32_e32 v6, v25, v6
	v_cndmask_b32_e64 v7, 0, v7, s[10:11]
	v_mul_f32_e32 v8, v11, v6
	s_and_b64 s[10:11], s[4:5], s[8:9]
	v_cndmask_b32_e64 v7, v7, v8, s[10:11]
	v_mul_f32_e32 v5, v10, v5
	s_and_b64 s[6:7], s[2:3], s[6:7]
	;; [unrolled: 3-line block ×3, first 2 shown]
	v_cndmask_b32_e64 v8, v5, v6, s[6:7]
.LBB1_150:                              ;   in Loop: Header=BB1_3 Depth=1
	s_or_b64 exec, exec, s[48:49]
	v_ashrrev_i32_e32 v5, 31, v4
	v_lshlrev_b64 v[6:7], 2, v[4:5]
	v_mov_b32_e32 v5, s69
	v_add_co_u32_e64 v6, s[6:7], s68, v6
	v_addc_co_u32_e64 v7, s[6:7], v5, v7, s[6:7]
	global_load_dword v9, v[6:7], off
	v_mul_f32_e32 v5, v1, v8
	s_mov_b64 s[8:9], 0
.LBB1_151:                              ;   Parent Loop BB1_3 Depth=1
                                        ; =>  This Inner Loop Header: Depth=2
	s_waitcnt vmcnt(0)
	v_add_f32_e32 v8, v9, v5
	global_atomic_cmpswap v8, v[6:7], v[8:9], off glc
	s_waitcnt vmcnt(0)
	v_cmp_eq_u32_e64 s[6:7], v8, v9
	s_or_b64 s[8:9], s[6:7], s[8:9]
	v_mov_b32_e32 v9, v8
	s_andn2_b64 exec, exec, s[8:9]
	s_cbranch_execnz .LBB1_151
.LBB1_152:                              ;   in Loop: Header=BB1_3 Depth=1
	s_or_b64 exec, exec, s[46:47]
	v_add_u32_e32 v5, 2, v2
	v_cmp_gt_i32_e64 s[6:7], -2, v2
	v_cmp_le_i32_e64 s[8:9], s14, v5
	s_or_b64 s[6:7], s[6:7], s[8:9]
	s_or_b64 s[6:7], s[6:7], s[44:45]
	s_xor_b64 s[6:7], s[6:7], -1
	s_and_b64 exec, exec, s[6:7]
	s_cbranch_execz .LBB1_2
; %bb.153:                              ;   in Loop: Header=BB1_3 Depth=1
	v_cvt_f32_u32_e32 v6, v5
	v_sub_f32_e32 v7, v3, v6
	v_cmp_lt_f32_e64 s[6:7], |v7|, 1.0
	s_and_b64 exec, exec, s[6:7]
	s_cbranch_execz .LBB1_2
; %bb.154:                              ;   in Loop: Header=BB1_3 Depth=1
	s_or_b64 s[6:7], vcc, s[40:41]
	s_or_b64 s[0:1], s[6:7], s[0:1]
	s_xor_b64 s[0:1], s[0:1], -1
	v_mov_b32_e32 v7, 0
	s_and_saveexec_b64 s[8:9], s[0:1]
	s_cbranch_execz .LBB1_156
; %bb.155:                              ;   in Loop: Header=BB1_3 Depth=1
	v_add_u32_e32 v2, 3, v2
	v_cvt_f32_u32_e32 v2, v2
	v_cmp_eq_u32_e32 vcc, v5, v26
	v_cmp_eq_u32_e64 s[0:1], v27, v5
	s_and_b64 s[6:7], s[4:5], vcc
	v_sub_f32_e32 v2, v2, v3
	v_mul_f32_e32 v3, v11, v2
	v_sub_f32_e32 v5, v25, v6
	v_cndmask_b32_e64 v3, 0, v3, s[6:7]
	v_mul_f32_e32 v6, v11, v5
	s_and_b64 s[4:5], s[4:5], s[0:1]
	v_cndmask_b32_e64 v3, v3, v6, s[4:5]
	v_mul_f32_e32 v2, v10, v2
	s_and_b64 vcc, s[2:3], vcc
	v_cndmask_b32_e32 v2, v3, v2, vcc
	v_mul_f32_e32 v3, v10, v5
	s_and_b64 vcc, s[2:3], s[0:1]
	v_cndmask_b32_e32 v7, v2, v3, vcc
.LBB1_156:                              ;   in Loop: Header=BB1_3 Depth=1
	s_or_b64 exec, exec, s[8:9]
	v_ashrrev_i32_e32 v5, 31, v4
	v_lshlrev_b64 v[2:3], 2, v[4:5]
	v_mov_b32_e32 v4, s71
	v_add_co_u32_e32 v2, vcc, s70, v2
	v_addc_co_u32_e32 v3, vcc, v4, v3, vcc
	global_load_dword v5, v[2:3], off
	v_mul_f32_e32 v1, v1, v7
	s_mov_b64 s[0:1], 0
.LBB1_157:                              ;   Parent Loop BB1_3 Depth=1
                                        ; =>  This Inner Loop Header: Depth=2
	s_waitcnt vmcnt(0)
	v_add_f32_e32 v4, v5, v1
	global_atomic_cmpswap v4, v[2:3], v[4:5], off glc
	s_waitcnt vmcnt(0)
	v_cmp_eq_u32_e32 vcc, v4, v5
	s_or_b64 s[0:1], vcc, s[0:1]
	v_mov_b32_e32 v5, v4
	s_andn2_b64 exec, exec, s[0:1]
	s_cbranch_execnz .LBB1_157
	s_branch .LBB1_2
.LBB1_158:
	s_endpgm
	.section	.rodata,"a",@progbits
	.p2align	6, 0x0
	.amdhsa_kernel _Z38modulated_deformable_col2im_gpu_kerneliPKfS0_S0_iiiiiiiiiiiiiiiiPf
		.amdhsa_group_segment_fixed_size 0
		.amdhsa_private_segment_fixed_size 0
		.amdhsa_kernarg_size 360
		.amdhsa_user_sgpr_count 6
		.amdhsa_user_sgpr_private_segment_buffer 1
		.amdhsa_user_sgpr_dispatch_ptr 0
		.amdhsa_user_sgpr_queue_ptr 0
		.amdhsa_user_sgpr_kernarg_segment_ptr 1
		.amdhsa_user_sgpr_dispatch_id 0
		.amdhsa_user_sgpr_flat_scratch_init 0
		.amdhsa_user_sgpr_kernarg_preload_length 0
		.amdhsa_user_sgpr_kernarg_preload_offset 0
		.amdhsa_user_sgpr_private_segment_size 0
		.amdhsa_uses_dynamic_stack 0
		.amdhsa_system_sgpr_private_segment_wavefront_offset 0
		.amdhsa_system_sgpr_workgroup_id_x 1
		.amdhsa_system_sgpr_workgroup_id_y 0
		.amdhsa_system_sgpr_workgroup_id_z 0
		.amdhsa_system_sgpr_workgroup_info 0
		.amdhsa_system_vgpr_workitem_id 0
		.amdhsa_next_free_vgpr 35
		.amdhsa_next_free_sgpr 72
		.amdhsa_accum_offset 36
		.amdhsa_reserve_vcc 1
		.amdhsa_reserve_flat_scratch 0
		.amdhsa_float_round_mode_32 0
		.amdhsa_float_round_mode_16_64 0
		.amdhsa_float_denorm_mode_32 3
		.amdhsa_float_denorm_mode_16_64 3
		.amdhsa_dx10_clamp 1
		.amdhsa_ieee_mode 1
		.amdhsa_fp16_overflow 0
		.amdhsa_tg_split 0
		.amdhsa_exception_fp_ieee_invalid_op 0
		.amdhsa_exception_fp_denorm_src 0
		.amdhsa_exception_fp_ieee_div_zero 0
		.amdhsa_exception_fp_ieee_overflow 0
		.amdhsa_exception_fp_ieee_underflow 0
		.amdhsa_exception_fp_ieee_inexact 0
		.amdhsa_exception_int_div_zero 0
	.end_amdhsa_kernel
	.text
.Lfunc_end1:
	.size	_Z38modulated_deformable_col2im_gpu_kerneliPKfS0_S0_iiiiiiiiiiiiiiiiPf, .Lfunc_end1-_Z38modulated_deformable_col2im_gpu_kerneliPKfS0_S0_iiiiiiiiiiiiiiiiPf
                                        ; -- End function
	.section	.AMDGPU.csdata,"",@progbits
; Kernel info:
; codeLenInByte = 8836
; NumSgprs: 76
; NumVgprs: 35
; NumAgprs: 0
; TotalNumVgprs: 35
; ScratchSize: 0
; MemoryBound: 0
; FloatMode: 240
; IeeeMode: 1
; LDSByteSize: 0 bytes/workgroup (compile time only)
; SGPRBlocks: 9
; VGPRBlocks: 4
; NumSGPRsForWavesPerEU: 76
; NumVGPRsForWavesPerEU: 35
; AccumOffset: 36
; Occupancy: 8
; WaveLimiterHint : 1
; COMPUTE_PGM_RSRC2:SCRATCH_EN: 0
; COMPUTE_PGM_RSRC2:USER_SGPR: 6
; COMPUTE_PGM_RSRC2:TRAP_HANDLER: 0
; COMPUTE_PGM_RSRC2:TGID_X_EN: 1
; COMPUTE_PGM_RSRC2:TGID_Y_EN: 0
; COMPUTE_PGM_RSRC2:TGID_Z_EN: 0
; COMPUTE_PGM_RSRC2:TIDIG_COMP_CNT: 0
; COMPUTE_PGM_RSRC3_GFX90A:ACCUM_OFFSET: 8
; COMPUTE_PGM_RSRC3_GFX90A:TG_SPLIT: 0
	.text
	.protected	_Z44modulated_deformable_col2im_coord_gpu_kerneliPKfS0_S0_S0_iiiiiiiiiiiiiiiiiPfS1_ ; -- Begin function _Z44modulated_deformable_col2im_coord_gpu_kerneliPKfS0_S0_S0_iiiiiiiiiiiiiiiiiPfS1_
	.globl	_Z44modulated_deformable_col2im_coord_gpu_kerneliPKfS0_S0_S0_iiiiiiiiiiiiiiiiiPfS1_
	.p2align	8
	.type	_Z44modulated_deformable_col2im_coord_gpu_kerneliPKfS0_S0_S0_iiiiiiiiiiiiiiiiiPfS1_,@function
_Z44modulated_deformable_col2im_coord_gpu_kerneliPKfS0_S0_S0_iiiiiiiiiiiiiiiiiPfS1_: ; @_Z44modulated_deformable_col2im_coord_gpu_kerneliPKfS0_S0_S0_iiiiiiiiiiiiiiiiiPfS1_
; %bb.0:
	s_load_dword s2, s[4:5], 0x8c
	s_load_dword s33, s[4:5], 0x0
	s_add_u32 s0, s4, 0x80
	s_addc_u32 s1, s5, 0
	s_waitcnt lgkmcnt(0)
	s_and_b32 s2, s2, 0xffff
	s_mul_i32 s6, s6, s2
	v_add_u32_e32 v0, s6, v0
	v_cmp_gt_i32_e32 vcc, s33, v0
	s_and_saveexec_b64 s[6:7], vcc
	s_cbranch_execz .LBB2_47
; %bb.1:
	s_load_dwordx16 s[8:23], s[4:5], 0x2c
	s_load_dwordx8 s[24:31], s[4:5], 0x8
	s_load_dwordx4 s[36:39], s[4:5], 0x70
	s_load_dword s62, s[0:1], 0x0
	s_mov_b64 s[6:7], 0
	s_waitcnt lgkmcnt(0)
	s_abs_i32 s59, s23
	v_cvt_f32_u32_e32 v1, s59
	s_abs_i32 s63, s22
	v_cvt_f32_u32_e32 v2, s63
	s_sub_i32 s0, 0, s59
	v_rcp_iflag_f32_e32 v1, v1
	s_abs_i32 s65, s20
	v_rcp_iflag_f32_e32 v2, v2
	s_lshl_b32 s54, s11, 1
	v_mul_f32_e32 v1, 0x4f7ffffe, v1
	v_cvt_u32_f32_e32 v1, v1
	s_mul_i32 s4, s54, s22
	s_mul_i32 s54, s54, s10
	s_abs_i32 s67, s54
	v_mul_lo_u32 v3, s0, v1
	v_mul_hi_u32 v3, v1, v3
	v_add_u32_e32 v12, v1, v3
	v_mul_f32_e32 v1, 0x4f7ffffe, v2
	v_cvt_f32_u32_e32 v2, s65
	v_cvt_u32_f32_e32 v1, v1
	s_sub_i32 s0, 0, s63
	s_abs_i32 s69, s10
	v_rcp_iflag_f32_e32 v2, v2
	v_mul_lo_u32 v3, s0, v1
	v_mul_hi_u32 v3, v1, v3
	v_add_u32_e32 v13, v1, v3
	v_mul_f32_e32 v1, 0x4f7ffffe, v2
	v_cvt_f32_u32_e32 v2, s67
	v_cvt_u32_f32_e32 v1, v1
	s_sub_i32 s0, 0, s65
	s_abs_i32 s71, s11
	v_rcp_iflag_f32_e32 v2, v2
	;; [unrolled: 9-line block ×3, first 2 shown]
	v_mul_lo_u32 v3, s0, v1
	v_mul_hi_u32 v3, v1, v3
	v_add_u32_e32 v15, v1, v3
	v_mul_f32_e32 v1, 0x4f7ffffe, v2
	v_cvt_u32_f32_e32 v1, v1
	s_sub_i32 s0, 0, s69
	v_cvt_f32_u32_e32 v2, s71
	v_cvt_f32_i32_e32 v10, s8
	v_mul_lo_u32 v3, s0, v1
	v_mul_hi_u32 v3, v1, v3
	v_add_u32_e32 v16, v1, v3
	v_cvt_f32_u32_e32 v1, s72
	v_rcp_iflag_f32_e32 v2, v2
	s_sub_i32 s0, 0, s71
	v_cvt_f32_i32_e32 v11, s9
	v_rcp_iflag_f32_e32 v1, v1
	v_mul_f32_e32 v2, 0x4f7ffffe, v2
	v_cvt_u32_f32_e32 v2, v2
	s_mul_i32 s3, s23, s18
	v_mul_f32_e32 v1, 0x4f7ffffe, v1
	v_cvt_u32_f32_e32 v1, v1
	v_mul_lo_u32 v3, s0, v2
	v_mul_hi_u32 v3, v2, v3
	s_sub_i32 s0, 0, s72
	s_mul_i32 s60, s23, s22
	v_add_u32_e32 v17, v2, v3
	v_mul_lo_u32 v2, s0, v1
	s_mul_i32 s56, s3, s19
	s_mul_i32 s58, s4, s23
	s_mul_i32 s55, s11, s10
	v_mul_hi_u32 v2, v1, v2
	s_mul_i32 s0, s60, s19
	s_mul_i32 s56, s56, s22
	;; [unrolled: 1-line block ×4, first 2 shown]
	s_add_i32 s61, s9, -1
	s_add_i32 s8, s8, -1
	s_mul_i32 s62, s62, s2
	s_ashr_i32 s64, s23, 31
	s_ashr_i32 s66, s22, 31
	;; [unrolled: 1-line block ×7, first 2 shown]
	v_add_u32_e32 v18, v1, v2
	s_mul_i32 s75, s55, s0
	s_branch .LBB2_3
.LBB2_2:                                ;   in Loop: Header=BB2_3 Depth=1
	s_or_b64 exec, exec, s[0:1]
	v_add_u32_e32 v0, s62, v0
	v_cmp_le_i32_e32 vcc, s33, v0
	s_or_b64 s[6:7], vcc, s[6:7]
	s_andn2_b64 exec, exec, s[6:7]
	s_cbranch_execz .LBB2_47
.LBB2_3:                                ; =>This Loop Header: Depth=1
                                        ;     Child Loop BB2_8 Depth 2
	v_sub_u32_e32 v3, 0, v0
	v_max_i32_e32 v3, v0, v3
	v_mul_hi_u32 v4, v3, v12
	v_mul_lo_u32 v5, v4, s59
	v_sub_u32_e32 v3, v3, v5
	v_add_u32_e32 v5, 1, v4
	v_cmp_le_u32_e32 vcc, s59, v3
	v_cndmask_b32_e32 v4, v4, v5, vcc
	v_subrev_u32_e32 v5, s59, v3
	v_cndmask_b32_e32 v3, v3, v5, vcc
	v_ashrrev_i32_e32 v1, 31, v0
	v_add_u32_e32 v5, 1, v4
	v_cmp_le_u32_e32 vcc, s59, v3
	v_xor_b32_e32 v2, s64, v1
	v_cndmask_b32_e32 v3, v4, v5, vcc
	v_xor_b32_e32 v3, v3, v2
	v_sub_u32_e32 v19, v3, v2
	v_ashrrev_i32_e32 v2, 31, v19
	v_xor_b32_e32 v5, s66, v2
	v_sub_u32_e32 v2, 0, v19
	v_max_i32_e32 v2, v19, v2
	v_mul_hi_u32 v3, v2, v13
	v_mul_lo_u32 v4, v3, s63
	v_sub_u32_e32 v2, v2, v4
	v_add_u32_e32 v4, 1, v3
	v_cmp_le_u32_e32 vcc, s63, v2
	v_cndmask_b32_e32 v3, v3, v4, vcc
	v_subrev_u32_e32 v4, s63, v2
	v_cndmask_b32_e32 v2, v2, v4, vcc
	v_add_u32_e32 v4, 1, v3
	v_cmp_le_u32_e32 vcc, s63, v2
	v_cndmask_b32_e32 v2, v3, v4, vcc
	v_xor_b32_e32 v6, v2, v5
	v_sub_u32_e32 v20, v6, v5
	v_ashrrev_i32_e32 v2, 31, v20
	v_xor_b32_e32 v7, s68, v2
	v_sub_u32_e32 v2, 0, v20
	v_max_i32_e32 v2, v20, v2
	v_mul_hi_u32 v3, v2, v14
	v_mul_lo_u32 v4, v3, s65
	v_sub_u32_e32 v2, v2, v4
	v_add_u32_e32 v4, 1, v3
	v_cmp_le_u32_e32 vcc, s65, v2
	v_cndmask_b32_e32 v3, v3, v4, vcc
	v_subrev_u32_e32 v4, s65, v2
	v_cndmask_b32_e32 v2, v2, v4, vcc
	v_add_u32_e32 v4, 1, v3
	v_cmp_le_u32_e32 vcc, s65, v2
	v_cndmask_b32_e32 v2, v3, v4, vcc
	v_xor_b32_e32 v8, v2, v7
	v_sub_u32_e32 v2, v8, v7
	v_mul_lo_u32 v3, v2, s20
	v_sub_u32_e32 v21, v20, v3
	v_sub_u32_e32 v4, 0, v21
	v_max_i32_e32 v4, v21, v4
	v_mul_hi_u32 v9, v4, v15
	v_mul_lo_u32 v22, v9, s67
	v_sub_u32_e32 v4, v4, v22
	v_add_u32_e32 v22, 1, v9
	v_cmp_le_u32_e32 vcc, s67, v4
	v_cndmask_b32_e32 v9, v9, v22, vcc
	v_subrev_u32_e32 v22, s67, v4
	v_cndmask_b32_e32 v4, v4, v22, vcc
	v_ashrrev_i32_e32 v3, 31, v21
	v_add_u32_e32 v22, 1, v9
	v_cmp_le_u32_e32 vcc, s67, v4
	v_xor_b32_e32 v3, s70, v3
	v_cndmask_b32_e32 v4, v9, v22, vcc
	v_xor_b32_e32 v4, v4, v3
	v_sub_u32_e32 v4, v4, v3
	v_mad_u64_u32 v[2:3], s[0:1], v2, s21, v[4:5]
	v_mul_lo_u32 v3, s54, v4
	v_sub_u32_e32 v3, v21, v3
	v_lshrrev_b32_e32 v9, 31, v3
	v_add_u32_e32 v9, v3, v9
	v_ashrrev_i32_e32 v23, 1, v9
	v_mul_lo_u32 v22, s55, v2
	v_cmp_gt_i32_e32 vcc, s18, v23
	s_mov_b32 s40, 0
	v_mov_b32_e32 v29, 0
	v_mov_b32_e32 v26, 0
	s_and_saveexec_b64 s[34:35], vcc
	s_cbranch_execz .LBB2_45
; %bb.4:                                ;   in Loop: Header=BB2_3 Depth=1
	v_mul_lo_u32 v24, s56, v4
	v_ashrrev_i32_e32 v25, 31, v24
	v_lshlrev_b64 v[24:25], 2, v[24:25]
	v_mov_b32_e32 v4, s25
	v_add_co_u32_e32 v24, vcc, s24, v24
	v_addc_co_u32_e32 v25, vcc, v4, v25, vcc
	v_mul_lo_u32 v4, v2, s18
	v_sub_u32_e32 v26, 0, v4
	v_ashrrev_i32_e32 v9, 31, v4
	v_max_i32_e32 v4, v4, v26
	v_mul_hi_u32 v26, v4, v16
	v_mul_lo_u32 v27, v26, s69
	v_sub_u32_e32 v4, v4, v27
	v_add_u32_e32 v27, 1, v26
	v_cmp_le_u32_e32 vcc, s69, v4
	v_cndmask_b32_e32 v26, v26, v27, vcc
	v_subrev_u32_e32 v27, s69, v4
	v_cndmask_b32_e32 v4, v4, v27, vcc
	v_add_u32_e32 v27, 1, v26
	v_cmp_le_u32_e32 vcc, s69, v4
	v_xor_b32_e32 v9, s10, v9
	v_cndmask_b32_e32 v4, v26, v27, vcc
	v_xor_b32_e32 v4, v4, v9
	v_sub_u32_e32 v4, v4, v9
	v_sub_u32_e32 v26, 0, v4
	v_ashrrev_i32_e32 v9, 31, v4
	v_max_i32_e32 v4, v4, v26
	v_mul_hi_u32 v26, v4, v17
	v_mul_lo_u32 v27, v26, s71
	v_sub_u32_e32 v4, v4, v27
	v_add_u32_e32 v27, 1, v26
	v_cmp_le_u32_e32 vcc, s71, v4
	v_cndmask_b32_e32 v26, v26, v27, vcc
	v_subrev_u32_e32 v27, s71, v4
	v_cndmask_b32_e32 v4, v4, v27, vcc
	v_add_u32_e32 v27, 1, v26
	v_cmp_le_u32_e32 vcc, s71, v4
	v_xor_b32_e32 v9, s73, v9
	v_cndmask_b32_e32 v4, v26, v27, vcc
	v_xor_b32_e32 v4, v4, v9
	v_sub_u32_e32 v4, v4, v9
	v_mul_lo_u32 v26, s57, v4
	v_ashrrev_i32_e32 v27, 31, v26
	v_lshlrev_b64 v[28:29], 2, v[26:27]
	v_mul_lo_u32 v30, s58, v2
	v_mov_b32_e32 v4, s27
	v_add_co_u32_e32 v27, vcc, s26, v28
	v_ashrrev_i32_e32 v31, 31, v30
	v_addc_co_u32_e32 v28, vcc, v4, v29, vcc
	v_lshlrev_b64 v[30:31], 2, v[30:31]
	v_mul_lo_u32 v32, s60, v22
	v_mov_b32_e32 v2, s29
	v_add_co_u32_e32 v30, vcc, s28, v30
	v_ashrrev_i32_e32 v33, 31, v32
	v_addc_co_u32_e32 v31, vcc, v2, v31, vcc
	v_lshlrev_b64 v[32:33], 2, v[32:33]
	v_mov_b32_e32 v2, s31
	v_add_co_u32_e32 v32, vcc, s30, v32
	v_addc_co_u32_e32 v33, vcc, v2, v33, vcc
	v_lshlrev_b32_e32 v2, 1, v23
	v_sub_u32_e32 v34, v3, v2
	v_mul_lo_u32 v2, s19, v23
	v_add3_u32 v2, v8, v5, v2
	v_sub_u32_e32 v2, v2, v7
	v_sub_u32_e32 v2, v2, v6
	v_mad_u64_u32 v[2:3], s[0:1], s60, v2, v[0:1]
	s_mov_b64 s[42:43], 0
	v_mov_b32_e32 v29, 0
	v_mov_b32_e32 v26, 0
	;; [unrolled: 1-line block ×3, first 2 shown]
	s_branch .LBB2_8
.LBB2_5:                                ;   in Loop: Header=BB2_8 Depth=2
	s_or_b64 exec, exec, s[0:1]
.LBB2_6:                                ;   in Loop: Header=BB2_8 Depth=2
	s_or_b64 exec, exec, s[44:45]
.LBB2_7:                                ;   in Loop: Header=BB2_8 Depth=2
	s_or_b64 exec, exec, s[4:5]
	v_lshlrev_b64 v[4:5], 2, v[2:3]
	v_add_co_u32_e32 v4, vcc, v24, v4
	v_addc_co_u32_e32 v5, vcc, v25, v5, vcc
	global_load_dword v3, v[4:5], off
	v_add_u32_e32 v35, s55, v35
	s_add_i32 s40, s40, s57
	v_cmp_le_i32_e32 vcc, s18, v35
	s_or_b64 s[42:43], vcc, s[42:43]
	v_add_u32_e32 v2, s75, v2
	s_waitcnt vmcnt(0)
	v_mul_f32_e32 v3, v8, v3
	v_fmac_f32_e32 v29, v36, v3
	s_andn2_b64 exec, exec, s[42:43]
	s_cbranch_execz .LBB2_44
.LBB2_8:                                ;   Parent Loop BB2_3 Depth=1
                                        ; =>  This Inner Loop Header: Depth=2
	v_sub_u32_e32 v5, 0, v2
	v_max_i32_e32 v5, v2, v5
	v_mul_hi_u32 v6, v5, v12
	v_mul_lo_u32 v7, v6, s59
	v_sub_u32_e32 v5, v5, v7
	v_add_u32_e32 v7, 1, v6
	v_cmp_le_u32_e32 vcc, s59, v5
	v_cndmask_b32_e32 v6, v6, v7, vcc
	v_subrev_u32_e32 v7, s59, v5
	v_cndmask_b32_e32 v5, v5, v7, vcc
	v_ashrrev_i32_e32 v3, 31, v2
	v_add_u32_e32 v7, 1, v6
	v_cmp_le_u32_e32 vcc, s59, v5
	v_xor_b32_e32 v4, s64, v3
	v_cndmask_b32_e32 v6, v6, v7, vcc
	v_xor_b32_e32 v6, v6, v4
	v_sub_u32_e32 v4, v6, v4
	v_sub_u32_e32 v8, 0, v4
	v_ashrrev_i32_e32 v6, 31, v4
	v_max_i32_e32 v4, v4, v8
	v_mul_hi_u32 v8, v4, v13
	v_mul_lo_u32 v9, v8, s63
	v_sub_u32_e32 v4, v4, v9
	v_add_u32_e32 v9, 1, v8
	v_cmp_le_u32_e64 s[0:1], s63, v4
	v_cndmask_b32_e64 v8, v8, v9, s[0:1]
	v_subrev_u32_e32 v9, s63, v4
	v_cndmask_b32_e64 v9, v4, v9, s[0:1]
	v_add_u32_e32 v4, 1, v8
	v_cmp_le_u32_e64 s[0:1], s63, v9
	v_xor_b32_e32 v7, s66, v6
	v_cndmask_b32_e64 v4, v8, v4, s[0:1]
	v_xor_b32_e32 v4, v4, v7
	v_sub_u32_e32 v4, v4, v7
	v_sub_u32_e32 v8, 0, v4
	v_ashrrev_i32_e32 v7, 31, v4
	v_max_i32_e32 v4, v4, v8
	v_mul_hi_u32 v8, v4, v18
	v_mul_lo_u32 v36, v8, s72
	v_sub_u32_e32 v4, v4, v36
	v_add_u32_e32 v36, 1, v8
	v_cmp_le_u32_e64 s[2:3], s72, v4
	v_cndmask_b32_e64 v8, v8, v36, s[2:3]
	v_subrev_u32_e32 v36, s72, v4
	v_cndmask_b32_e64 v4, v4, v36, s[2:3]
	v_add_u32_e32 v36, 1, v8
	v_cmp_le_u32_e64 s[2:3], s72, v4
	v_xor_b32_e32 v7, s74, v7
	v_cndmask_b32_e64 v4, v8, v36, s[2:3]
	;; [unrolled: 17-line block ×3, first 2 shown]
	v_xor_b32_e32 v36, v36, v8
	v_sub_u32_e32 v8, v36, v8
	v_sub_u32_e32 v37, 0, v8
	v_ashrrev_i32_e32 v36, 31, v8
	v_max_i32_e32 v8, v8, v37
	v_mul_hi_u32 v37, v8, v16
	v_mul_lo_u32 v37, v37, s69
	v_sub_u32_e32 v8, v8, v37
	v_subrev_u32_e32 v37, s69, v8
	v_cmp_le_u32_e64 s[4:5], s69, v8
	v_cndmask_b32_e64 v8, v8, v37, s[4:5]
	v_subrev_u32_e32 v37, s69, v8
	v_cmp_le_u32_e64 s[4:5], s69, v8
	v_cndmask_b32_e64 v8, v8, v37, s[4:5]
	v_xor_b32_e32 v8, v8, v36
	v_sub_u32_e32 v38, v8, v36
	v_subrev_u32_e32 v8, s71, v4
	v_cndmask_b32_e64 v4, v4, v8, s[2:3]
	v_xor_b32_e32 v4, v4, v7
	v_sub_u32_e32 v4, v4, v7
	v_subrev_u32_e32 v7, s63, v9
	;; [unrolled: 4-line block ×3, first 2 shown]
	v_cndmask_b32_e32 v5, v5, v6, vcc
	v_xor_b32_e32 v5, v5, v3
	v_mad_u64_u32 v[8:9], s[0:1], v38, s11, v[4:5]
	v_sub_u32_e32 v6, v5, v3
	v_mul_lo_u32 v5, v8, s22
	v_lshl_add_u32 v36, v5, 1, v7
	v_mad_u64_u32 v[8:9], s[0:1], v36, s23, v[6:7]
	v_add_u32_e32 v9, s22, v36
	v_mad_u64_u32 v[36:37], s[0:1], v9, s23, v[6:7]
	v_ashrrev_i32_e32 v9, 31, v8
	v_lshlrev_b64 v[8:9], 2, v[8:9]
	v_add_co_u32_e32 v8, vcc, v30, v8
	v_ashrrev_i32_e32 v37, 31, v36
	v_addc_co_u32_e32 v9, vcc, v31, v9, vcc
	v_lshlrev_b64 v[36:37], 2, v[36:37]
	v_add_co_u32_e32 v36, vcc, v30, v36
	v_add_u32_e32 v5, v5, v7
	v_addc_co_u32_e32 v37, vcc, v31, v37, vcc
	global_load_dword v8, v[8:9], off
	s_nop 0
	global_load_dword v9, v[36:37], off
	v_mad_u64_u32 v[36:37], s[0:1], v5, s23, v[6:7]
	v_ashrrev_i32_e32 v37, 31, v36
	v_lshlrev_b64 v[36:37], 2, v[36:37]
	v_add_co_u32_e32 v36, vcc, v32, v36
	v_addc_co_u32_e32 v37, vcc, v33, v37, vcc
	global_load_dword v36, v[36:37], off
	v_mul_lo_u32 v5, v38, s16
	v_mul_lo_u32 v37, v4, s17
	v_subrev_u32_e32 v4, s12, v5
	v_subrev_u32_e32 v38, s13, v37
	v_mad_u64_u32 v[4:5], s[0:1], v7, s14, v[4:5]
	v_mad_u64_u32 v[6:7], s[0:1], v6, s15, v[38:39]
	v_cvt_f32_i32_e32 v5, v6
	v_cvt_f32_i32_e32 v4, v4
	s_waitcnt vmcnt(1)
	v_pk_add_f32 v[4:5], v[8:9], v[4:5]
	v_max_f32_e32 v6, v5, v5
	v_max_f32_e32 v7, v4, v4
	v_cmp_ge_f32_e32 vcc, v4, v10
	v_min_f32_e32 v6, v7, v6
	v_cmp_ge_f32_e64 s[2:3], v5, v11
	v_cmp_ge_f32_e64 s[0:1], -1.0, v6
	s_or_b64 s[2:3], vcc, s[2:3]
	s_or_b64 s[0:1], s[2:3], s[0:1]
                                        ; implicit-def: $sgpr2
	s_and_saveexec_b64 s[4:5], s[0:1]
	s_xor_b64 s[0:1], exec, s[4:5]
; %bb.9:                                ;   in Loop: Header=BB2_8 Depth=2
	s_ashr_i32 s41, s40, 31
	s_mov_b32 s2, -2.0
                                        ; implicit-def: $vgpr4_vgpr5
; %bb.10:                               ;   in Loop: Header=BB2_8 Depth=2
	s_or_saveexec_b64 s[4:5], s[0:1]
	v_mov_b32_e32 v37, s2
	v_pk_mov_b32 v[6:7], s[40:41], s[40:41] op_sel:[0,1]
	v_mov_b32_e32 v38, s2
	s_xor_b64 exec, exec, s[4:5]
	s_cbranch_execz .LBB2_20
; %bb.11:                               ;   in Loop: Header=BB2_8 Depth=2
	v_lshlrev_b64 v[6:7], 2, v[2:3]
	v_add_co_u32_e32 v6, vcc, v24, v6
	v_addc_co_u32_e32 v7, vcc, v25, v7, vcc
	global_load_dword v7, v[6:7], off
	v_floor_f32_e32 v9, v4
	v_floor_f32_e32 v6, v5
	s_ashr_i32 s41, s40, 31
	v_cvt_i32_f32_e32 v6, v6
	v_cvt_i32_f32_e32 v37, v9
	s_lshl_b64 s[0:1], s[40:41], 2
	v_mov_b32_e32 v8, s1
	v_add_co_u32_e32 v40, vcc, s0, v27
	v_addc_co_u32_e32 v41, vcc, v28, v8, vcc
	v_cmp_lt_i32_e64 s[2:3], -1, v37
	v_cmp_lt_i32_e32 vcc, -1, v6
	s_and_b64 s[0:1], s[2:3], vcc
	v_mov_b32_e32 v39, 0
	v_mov_b32_e32 v38, 0
	s_and_saveexec_b64 s[44:45], s[0:1]
	s_cbranch_execz .LBB2_13
; %bb.12:                               ;   in Loop: Header=BB2_8 Depth=2
	s_waitcnt vmcnt(0)
	v_mad_u64_u32 v[8:9], s[0:1], v37, s9, v[6:7]
	v_ashrrev_i32_e32 v9, 31, v8
	v_lshlrev_b64 v[8:9], 2, v[8:9]
	v_add_co_u32_e64 v8, s[0:1], v40, v8
	v_addc_co_u32_e64 v9, s[0:1], v41, v9, s[0:1]
	global_load_dword v38, v[8:9], off
.LBB2_13:                               ;   in Loop: Header=BB2_8 Depth=2
	s_or_b64 exec, exec, s[44:45]
	v_cmp_gt_i32_e64 s[0:1], s61, v6
	s_and_b64 s[2:3], s[2:3], s[0:1]
	v_ashrrev_i32_e32 v42, 31, v6
	s_and_saveexec_b64 s[44:45], s[2:3]
	s_cbranch_execz .LBB2_15
; %bb.14:                               ;   in Loop: Header=BB2_8 Depth=2
	v_mul_lo_u32 v8, v37, s9
	v_ashrrev_i32_e32 v9, 31, v8
	v_add_co_u32_e64 v8, s[2:3], v8, v6
	v_addc_co_u32_e64 v9, s[2:3], v9, v42, s[2:3]
	v_lshlrev_b64 v[8:9], 2, v[8:9]
	v_add_co_u32_e64 v8, s[2:3], v40, v8
	v_addc_co_u32_e64 v9, s[2:3], v41, v9, s[2:3]
	global_load_dword v39, v[8:9], off offset:4
.LBB2_15:                               ;   in Loop: Header=BB2_8 Depth=2
	s_or_b64 exec, exec, s[44:45]
	v_cmp_gt_i32_e64 s[2:3], s8, v37
	v_add_u32_e32 v43, 1, v37
	s_and_b64 s[46:47], s[2:3], vcc
	v_mov_b32_e32 v9, 0
	v_mov_b32_e32 v8, 0
	s_and_saveexec_b64 s[44:45], s[46:47]
	s_cbranch_execz .LBB2_17
; %bb.16:                               ;   in Loop: Header=BB2_8 Depth=2
	s_waitcnt vmcnt(0)
	v_mad_u64_u32 v[44:45], s[46:47], v43, s9, v[6:7]
	v_ashrrev_i32_e32 v45, 31, v44
	v_lshlrev_b64 v[44:45], 2, v[44:45]
	v_add_co_u32_e32 v44, vcc, v40, v44
	v_addc_co_u32_e32 v45, vcc, v41, v45, vcc
	global_load_dword v8, v[44:45], off
.LBB2_17:                               ;   in Loop: Header=BB2_8 Depth=2
	s_or_b64 exec, exec, s[44:45]
	s_and_b64 s[2:3], s[2:3], s[0:1]
	s_and_saveexec_b64 s[0:1], s[2:3]
	s_cbranch_execz .LBB2_19
; %bb.18:                               ;   in Loop: Header=BB2_8 Depth=2
	v_mul_lo_u32 v9, v43, s9
	v_ashrrev_i32_e32 v43, 31, v9
	v_add_co_u32_e32 v44, vcc, v9, v6
	v_addc_co_u32_e32 v45, vcc, v43, v42, vcc
	v_lshlrev_b64 v[42:43], 2, v[44:45]
	v_add_co_u32_e32 v40, vcc, v40, v42
	v_addc_co_u32_e32 v41, vcc, v41, v43, vcc
	global_load_dword v9, v[40:41], off offset:4
.LBB2_19:                               ;   in Loop: Header=BB2_8 Depth=2
	s_or_b64 exec, exec, s[0:1]
	v_cvt_f32_i32_e32 v41, v6
	v_cvt_f32_i32_e32 v40, v37
	v_pk_add_f32 v[40:41], v[4:5], v[40:41] neg_lo:[0,1] neg_hi:[0,1]
	v_pk_add_f32 v[42:43], v[40:41], 1.0 op_sel_hi:[1,0] neg_lo:[1,0] neg_hi:[1,0]
	v_mul_f32_e32 v6, v43, v42
	v_mul_f32_e32 v37, v41, v42
	v_mov_b32_e32 v42, v43
	v_mov_b32_e32 v43, v40
	v_pk_mul_f32 v[40:41], v[40:41], v[42:43]
	s_waitcnt vmcnt(0)
	v_mul_f32_e32 v37, v37, v39
	v_fmac_f32_e32 v37, v6, v38
	v_pk_mul_f32 v[8:9], v[40:41], v[8:9]
	v_add_f32_e32 v6, v37, v8
	v_add_f32_e32 v6, v6, v9
	v_fmac_f32_e32 v26, v7, v6
	v_pk_mov_b32 v[6:7], s[40:41], s[40:41] op_sel:[0,1]
	v_mov_b32_e32 v37, v5
	v_mov_b32_e32 v38, v4
.LBB2_20:                               ;   in Loop: Header=BB2_8 Depth=2
	s_or_b64 exec, exec, s[4:5]
	v_cmp_nge_f32_e32 vcc, -1.0, v38
	v_mov_b32_e32 v8, 0
	s_and_saveexec_b64 s[4:5], vcc
	s_cbranch_execz .LBB2_7
; %bb.21:                               ;   in Loop: Header=BB2_8 Depth=2
	v_cmp_nge_f32_e32 vcc, v38, v10
	v_cmp_nge_f32_e64 s[2:3], v37, v11
	v_cmp_nge_f32_e64 s[0:1], -1.0, v37
	s_and_b64 s[2:3], vcc, s[2:3]
	s_and_b64 s[0:1], s[2:3], s[0:1]
	v_mov_b32_e32 v8, 0
	s_and_saveexec_b64 s[44:45], s[0:1]
	s_cbranch_execz .LBB2_6
; %bb.22:                               ;   in Loop: Header=BB2_8 Depth=2
	v_floor_f32_e32 v4, v38
	v_cvt_i32_f32_e32 v9, v4
	v_floor_f32_e32 v4, v37
	v_lshlrev_b64 v[40:41], 2, v[6:7]
	v_cvt_i32_f32_e32 v4, v4
	v_add_co_u32_e32 v5, vcc, v27, v40
	v_addc_co_u32_e32 v6, vcc, v28, v41, vcc
	v_add_u32_e32 v7, 1, v9
	v_cmp_lt_i32_e32 vcc, 0, v34
	s_mov_b64 s[46:47], 0
                                        ; implicit-def: $vgpr8
	s_and_saveexec_b64 s[0:1], vcc
	s_xor_b64 s[48:49], exec, s[0:1]
	s_cbranch_execnz .LBB2_25
; %bb.23:                               ;   in Loop: Header=BB2_8 Depth=2
	s_andn2_saveexec_b64 s[48:49], s[48:49]
	s_cbranch_execnz .LBB2_34
.LBB2_24:                               ;   in Loop: Header=BB2_8 Depth=2
	s_or_b64 exec, exec, s[48:49]
	s_and_saveexec_b64 s[0:1], s[46:47]
	s_cbranch_execz .LBB2_5
	s_branch .LBB2_43
.LBB2_25:                               ;   in Loop: Header=BB2_8 Depth=2
	v_cmp_eq_u32_e32 vcc, 1, v34
	s_mov_b64 s[0:1], 0
	v_mov_b32_e32 v8, 0
	s_and_saveexec_b64 s[46:47], vcc
	s_cbranch_execz .LBB2_33
; %bb.26:                               ;   in Loop: Header=BB2_8 Depth=2
	v_cvt_f32_u32_e32 v37, v7
	v_or_b32_e32 v8, v9, v4
	v_cmp_lt_i32_e64 s[2:3], -1, v9
	v_cmp_lt_i32_e32 vcc, -1, v4
	v_cmp_lt_i32_e64 s[0:1], -1, v8
	v_mov_b32_e32 v8, 0
	v_sub_f32_e32 v37, v37, v38
	s_and_saveexec_b64 s[50:51], s[0:1]
	s_cbranch_execz .LBB2_28
; %bb.27:                               ;   in Loop: Header=BB2_8 Depth=2
	v_mad_u64_u32 v[40:41], s[0:1], v9, s9, v[4:5]
	v_ashrrev_i32_e32 v41, 31, v40
	v_lshlrev_b64 v[40:41], 2, v[40:41]
	v_add_co_u32_e64 v40, s[0:1], v5, v40
	v_addc_co_u32_e64 v41, s[0:1], v6, v41, s[0:1]
	global_load_dword v8, v[40:41], off
	s_waitcnt vmcnt(0)
	v_fma_f32 v8, -v37, v8, 0
.LBB2_28:                               ;   in Loop: Header=BB2_8 Depth=2
	s_or_b64 exec, exec, s[50:51]
	v_cmp_gt_i32_e64 s[0:1], s61, v4
	s_and_b64 s[2:3], s[2:3], s[0:1]
	s_and_saveexec_b64 s[50:51], s[2:3]
	s_cbranch_execz .LBB2_30
; %bb.29:                               ;   in Loop: Header=BB2_8 Depth=2
	v_mul_lo_u32 v39, v9, s9
	v_ashrrev_i32_e32 v41, 31, v39
	v_ashrrev_i32_e32 v42, 31, v4
	v_add_co_u32_e64 v40, s[2:3], v4, v39
	v_addc_co_u32_e64 v41, s[2:3], v42, v41, s[2:3]
	v_lshlrev_b64 v[40:41], 2, v[40:41]
	v_add_co_u32_e64 v40, s[2:3], v5, v40
	v_addc_co_u32_e64 v41, s[2:3], v6, v41, s[2:3]
	global_load_dword v39, v[40:41], off offset:4
	s_waitcnt vmcnt(0)
	v_fmac_f32_e32 v8, v37, v39
.LBB2_30:                               ;   in Loop: Header=BB2_8 Depth=2
	s_or_b64 exec, exec, s[50:51]
	v_cmp_gt_i32_e64 s[2:3], s8, v9
	s_and_b64 s[52:53], s[2:3], vcc
	s_and_saveexec_b64 s[50:51], s[52:53]
	s_cbranch_execz .LBB2_32
; %bb.31:                               ;   in Loop: Header=BB2_8 Depth=2
	v_mad_u64_u32 v[40:41], s[52:53], v7, s9, v[4:5]
	v_ashrrev_i32_e32 v41, 31, v40
	v_lshlrev_b64 v[40:41], 2, v[40:41]
	v_add_co_u32_e32 v40, vcc, v5, v40
	v_addc_co_u32_e32 v41, vcc, v6, v41, vcc
	global_load_dword v37, v[40:41], off
	v_cvt_f32_i32_e32 v39, v9
	v_sub_f32_e32 v39, v38, v39
	s_waitcnt vmcnt(0)
	v_fma_f32 v8, -v39, v37, v8
.LBB2_32:                               ;   in Loop: Header=BB2_8 Depth=2
	s_or_b64 exec, exec, s[50:51]
	s_and_b64 s[0:1], s[2:3], s[0:1]
	s_and_b64 s[0:1], s[0:1], exec
.LBB2_33:                               ;   in Loop: Header=BB2_8 Depth=2
	s_or_b64 exec, exec, s[46:47]
	s_and_b64 s[46:47], s[0:1], exec
	v_mov_b32_e32 v37, v38
	s_andn2_saveexec_b64 s[48:49], s[48:49]
	s_cbranch_execz .LBB2_24
.LBB2_34:                               ;   in Loop: Header=BB2_8 Depth=2
	v_cmp_eq_u32_e32 vcc, 0, v34
	v_mov_b32_e32 v8, 0
	s_mov_b64 s[0:1], s[46:47]
	s_and_saveexec_b64 s[50:51], vcc
	s_cbranch_execz .LBB2_42
; %bb.35:                               ;   in Loop: Header=BB2_8 Depth=2
	v_add_u32_e32 v8, 1, v4
	v_cvt_f32_u32_e32 v39, v8
	v_or_b32_e32 v38, v9, v4
	v_cmp_lt_i32_e64 s[2:3], -1, v9
	v_cmp_lt_i32_e32 vcc, -1, v4
	v_cmp_lt_i32_e64 s[0:1], -1, v38
	v_mov_b32_e32 v8, 0
	v_sub_f32_e32 v38, v39, v37
	s_and_saveexec_b64 s[52:53], s[0:1]
	s_cbranch_execz .LBB2_37
; %bb.36:                               ;   in Loop: Header=BB2_8 Depth=2
	v_mad_u64_u32 v[40:41], s[0:1], v9, s9, v[4:5]
	v_ashrrev_i32_e32 v41, 31, v40
	v_lshlrev_b64 v[40:41], 2, v[40:41]
	v_add_co_u32_e64 v40, s[0:1], v5, v40
	v_addc_co_u32_e64 v41, s[0:1], v6, v41, s[0:1]
	global_load_dword v8, v[40:41], off
	s_waitcnt vmcnt(0)
	v_fma_f32 v8, -v38, v8, 0
.LBB2_37:                               ;   in Loop: Header=BB2_8 Depth=2
	s_or_b64 exec, exec, s[52:53]
	v_cmp_gt_i32_e64 s[0:1], s61, v4
	s_and_b64 s[2:3], s[2:3], s[0:1]
	s_and_saveexec_b64 s[52:53], s[2:3]
	s_cbranch_execz .LBB2_39
; %bb.38:                               ;   in Loop: Header=BB2_8 Depth=2
	v_mul_lo_u32 v39, v9, s9
	v_ashrrev_i32_e32 v41, 31, v39
	v_ashrrev_i32_e32 v42, 31, v4
	v_add_co_u32_e64 v40, s[2:3], v4, v39
	v_addc_co_u32_e64 v41, s[2:3], v42, v41, s[2:3]
	v_lshlrev_b64 v[40:41], 2, v[40:41]
	v_add_co_u32_e64 v40, s[2:3], v5, v40
	v_addc_co_u32_e64 v41, s[2:3], v6, v41, s[2:3]
	global_load_dword v39, v[40:41], off offset:4
	v_cvt_f32_i32_e32 v40, v4
	v_sub_f32_e32 v40, v37, v40
	s_waitcnt vmcnt(0)
	v_fma_f32 v8, -v40, v39, v8
.LBB2_39:                               ;   in Loop: Header=BB2_8 Depth=2
	s_or_b64 exec, exec, s[52:53]
	v_cmp_gt_i32_e64 s[2:3], s8, v9
	s_and_b64 s[76:77], s[2:3], vcc
	s_and_saveexec_b64 s[52:53], s[76:77]
	s_cbranch_execz .LBB2_41
; %bb.40:                               ;   in Loop: Header=BB2_8 Depth=2
	v_mad_u64_u32 v[40:41], s[76:77], v7, s9, v[4:5]
	v_ashrrev_i32_e32 v41, 31, v40
	v_lshlrev_b64 v[40:41], 2, v[40:41]
	v_add_co_u32_e32 v40, vcc, v5, v40
	v_addc_co_u32_e32 v41, vcc, v6, v41, vcc
	global_load_dword v9, v[40:41], off
	s_waitcnt vmcnt(0)
	v_fmac_f32_e32 v8, v38, v9
.LBB2_41:                               ;   in Loop: Header=BB2_8 Depth=2
	s_or_b64 exec, exec, s[52:53]
	s_and_b64 s[0:1], s[2:3], s[0:1]
	s_andn2_b64 s[2:3], s[46:47], exec
	s_and_b64 s[0:1], s[0:1], exec
	s_or_b64 s[0:1], s[2:3], s[0:1]
.LBB2_42:                               ;   in Loop: Header=BB2_8 Depth=2
	s_or_b64 exec, exec, s[50:51]
	s_andn2_b64 s[2:3], s[46:47], exec
	s_and_b64 s[0:1], s[0:1], exec
	s_or_b64 s[46:47], s[2:3], s[0:1]
	v_mov_b32_e32 v9, v4
	s_or_b64 exec, exec, s[48:49]
	s_and_saveexec_b64 s[0:1], s[46:47]
	s_cbranch_execz .LBB2_5
.LBB2_43:                               ;   in Loop: Header=BB2_8 Depth=2
	v_mul_lo_u32 v7, v7, s9
	v_ashrrev_i32_e32 v39, 31, v7
	v_ashrrev_i32_e32 v40, 31, v4
	v_add_co_u32_e32 v38, vcc, v7, v4
	v_addc_co_u32_e32 v39, vcc, v39, v40, vcc
	v_lshlrev_b64 v[38:39], 2, v[38:39]
	v_add_co_u32_e32 v4, vcc, v5, v38
	v_addc_co_u32_e32 v5, vcc, v6, v39, vcc
	global_load_dword v4, v[4:5], off offset:4
	v_cvt_f32_i32_e32 v5, v9
	v_sub_f32_e32 v5, v37, v5
	s_waitcnt vmcnt(0)
	v_fmac_f32_e32 v8, v5, v4
	s_branch .LBB2_5
.LBB2_44:                               ;   in Loop: Header=BB2_3 Depth=1
	s_or_b64 exec, exec, s[42:43]
.LBB2_45:                               ;   in Loop: Header=BB2_3 Depth=1
	s_or_b64 exec, exec, s[34:35]
	v_lshlrev_b64 v[2:3], 2, v[0:1]
	v_mov_b32_e32 v1, s37
	v_add_co_u32_e32 v2, vcc, s36, v2
	v_addc_co_u32_e32 v3, vcc, v1, v3, vcc
	v_and_b32_e32 v1, 1, v21
	v_cmp_eq_u32_e32 vcc, 0, v1
	global_store_dword v[2:3], v29, off
	s_and_saveexec_b64 s[0:1], vcc
	s_cbranch_execz .LBB2_2
; %bb.46:                               ;   in Loop: Header=BB2_3 Depth=1
	v_mul_lo_u32 v1, v19, s23
	v_sub_u32_e32 v2, v0, v1
	v_mul_lo_u32 v1, v20, s22
	v_sub_u32_e32 v4, v19, v1
	v_add_u32_e32 v1, v23, v22
	v_mad_u64_u32 v[4:5], s[2:3], v1, s22, v[4:5]
	v_mad_u64_u32 v[2:3], s[2:3], v4, s23, v[2:3]
	v_ashrrev_i32_e32 v3, 31, v2
	v_lshlrev_b64 v[2:3], 2, v[2:3]
	v_mov_b32_e32 v1, s39
	v_add_co_u32_e32 v2, vcc, s38, v2
	v_addc_co_u32_e32 v3, vcc, v1, v3, vcc
	global_store_dword v[2:3], v26, off
	s_branch .LBB2_2
.LBB2_47:
	s_endpgm
	.section	.rodata,"a",@progbits
	.p2align	6, 0x0
	.amdhsa_kernel _Z44modulated_deformable_col2im_coord_gpu_kerneliPKfS0_S0_S0_iiiiiiiiiiiiiiiiiPfS1_
		.amdhsa_group_segment_fixed_size 0
		.amdhsa_private_segment_fixed_size 0
		.amdhsa_kernarg_size 384
		.amdhsa_user_sgpr_count 6
		.amdhsa_user_sgpr_private_segment_buffer 1
		.amdhsa_user_sgpr_dispatch_ptr 0
		.amdhsa_user_sgpr_queue_ptr 0
		.amdhsa_user_sgpr_kernarg_segment_ptr 1
		.amdhsa_user_sgpr_dispatch_id 0
		.amdhsa_user_sgpr_flat_scratch_init 0
		.amdhsa_user_sgpr_kernarg_preload_length 0
		.amdhsa_user_sgpr_kernarg_preload_offset 0
		.amdhsa_user_sgpr_private_segment_size 0
		.amdhsa_uses_dynamic_stack 0
		.amdhsa_system_sgpr_private_segment_wavefront_offset 0
		.amdhsa_system_sgpr_workgroup_id_x 1
		.amdhsa_system_sgpr_workgroup_id_y 0
		.amdhsa_system_sgpr_workgroup_id_z 0
		.amdhsa_system_sgpr_workgroup_info 0
		.amdhsa_system_vgpr_workitem_id 0
		.amdhsa_next_free_vgpr 46
		.amdhsa_next_free_sgpr 78
		.amdhsa_accum_offset 48
		.amdhsa_reserve_vcc 1
		.amdhsa_reserve_flat_scratch 0
		.amdhsa_float_round_mode_32 0
		.amdhsa_float_round_mode_16_64 0
		.amdhsa_float_denorm_mode_32 3
		.amdhsa_float_denorm_mode_16_64 3
		.amdhsa_dx10_clamp 1
		.amdhsa_ieee_mode 1
		.amdhsa_fp16_overflow 0
		.amdhsa_tg_split 0
		.amdhsa_exception_fp_ieee_invalid_op 0
		.amdhsa_exception_fp_denorm_src 0
		.amdhsa_exception_fp_ieee_div_zero 0
		.amdhsa_exception_fp_ieee_overflow 0
		.amdhsa_exception_fp_ieee_underflow 0
		.amdhsa_exception_fp_ieee_inexact 0
		.amdhsa_exception_int_div_zero 0
	.end_amdhsa_kernel
	.text
.Lfunc_end2:
	.size	_Z44modulated_deformable_col2im_coord_gpu_kerneliPKfS0_S0_S0_iiiiiiiiiiiiiiiiiPfS1_, .Lfunc_end2-_Z44modulated_deformable_col2im_coord_gpu_kerneliPKfS0_S0_S0_iiiiiiiiiiiiiiiiiPfS1_
                                        ; -- End function
	.section	.AMDGPU.csdata,"",@progbits
; Kernel info:
; codeLenInByte = 3644
; NumSgprs: 82
; NumVgprs: 46
; NumAgprs: 0
; TotalNumVgprs: 46
; ScratchSize: 0
; MemoryBound: 0
; FloatMode: 240
; IeeeMode: 1
; LDSByteSize: 0 bytes/workgroup (compile time only)
; SGPRBlocks: 10
; VGPRBlocks: 5
; NumSGPRsForWavesPerEU: 82
; NumVGPRsForWavesPerEU: 46
; AccumOffset: 48
; Occupancy: 8
; WaveLimiterHint : 1
; COMPUTE_PGM_RSRC2:SCRATCH_EN: 0
; COMPUTE_PGM_RSRC2:USER_SGPR: 6
; COMPUTE_PGM_RSRC2:TRAP_HANDLER: 0
; COMPUTE_PGM_RSRC2:TGID_X_EN: 1
; COMPUTE_PGM_RSRC2:TGID_Y_EN: 0
; COMPUTE_PGM_RSRC2:TGID_Z_EN: 0
; COMPUTE_PGM_RSRC2:TIDIG_COMP_CNT: 0
; COMPUTE_PGM_RSRC3_GFX90A:ACCUM_OFFSET: 11
; COMPUTE_PGM_RSRC3_GFX90A:TG_SPLIT: 0
	.text
	.p2alignl 6, 3212836864
	.fill 256, 4, 3212836864
	.type	__hip_cuid_6ec17ddf1b8b05fc,@object ; @__hip_cuid_6ec17ddf1b8b05fc
	.section	.bss,"aw",@nobits
	.globl	__hip_cuid_6ec17ddf1b8b05fc
__hip_cuid_6ec17ddf1b8b05fc:
	.byte	0                               ; 0x0
	.size	__hip_cuid_6ec17ddf1b8b05fc, 1

	.ident	"AMD clang version 19.0.0git (https://github.com/RadeonOpenCompute/llvm-project roc-6.4.0 25133 c7fe45cf4b819c5991fe208aaa96edf142730f1d)"
	.section	".note.GNU-stack","",@progbits
	.addrsig
	.addrsig_sym __hip_cuid_6ec17ddf1b8b05fc
	.amdgpu_metadata
---
amdhsa.kernels:
  - .agpr_count:     0
    .args:
      - .offset:         0
        .size:           4
        .value_kind:     by_value
      - .address_space:  global
        .offset:         8
        .size:           8
        .value_kind:     global_buffer
      - .address_space:  global
        .offset:         16
        .size:           8
        .value_kind:     global_buffer
      - .address_space:  global
        .offset:         24
        .size:           8
        .value_kind:     global_buffer
      - .offset:         32
        .size:           4
        .value_kind:     by_value
      - .offset:         36
        .size:           4
        .value_kind:     by_value
      - .offset:         40
        .size:           4
        .value_kind:     by_value
      - .offset:         44
        .size:           4
        .value_kind:     by_value
      - .offset:         48
        .size:           4
        .value_kind:     by_value
      - .offset:         52
        .size:           4
        .value_kind:     by_value
      - .offset:         56
        .size:           4
        .value_kind:     by_value
      - .offset:         60
        .size:           4
        .value_kind:     by_value
      - .offset:         64
        .size:           4
        .value_kind:     by_value
      - .offset:         68
        .size:           4
        .value_kind:     by_value
      - .offset:         72
        .size:           4
        .value_kind:     by_value
      - .offset:         76
        .size:           4
        .value_kind:     by_value
      - .offset:         80
        .size:           4
        .value_kind:     by_value
      - .offset:         84
        .size:           4
        .value_kind:     by_value
      - .offset:         88
        .size:           4
        .value_kind:     by_value
      - .offset:         92
        .size:           4
        .value_kind:     by_value
      - .address_space:  global
        .offset:         96
        .size:           8
        .value_kind:     global_buffer
      - .offset:         104
        .size:           4
        .value_kind:     hidden_block_count_x
      - .offset:         108
        .size:           4
        .value_kind:     hidden_block_count_y
      - .offset:         112
        .size:           4
        .value_kind:     hidden_block_count_z
      - .offset:         116
        .size:           2
        .value_kind:     hidden_group_size_x
      - .offset:         118
        .size:           2
        .value_kind:     hidden_group_size_y
      - .offset:         120
        .size:           2
        .value_kind:     hidden_group_size_z
      - .offset:         122
        .size:           2
        .value_kind:     hidden_remainder_x
      - .offset:         124
        .size:           2
        .value_kind:     hidden_remainder_y
      - .offset:         126
        .size:           2
        .value_kind:     hidden_remainder_z
      - .offset:         144
        .size:           8
        .value_kind:     hidden_global_offset_x
      - .offset:         152
        .size:           8
        .value_kind:     hidden_global_offset_y
      - .offset:         160
        .size:           8
        .value_kind:     hidden_global_offset_z
      - .offset:         168
        .size:           2
        .value_kind:     hidden_grid_dims
    .group_segment_fixed_size: 0
    .kernarg_segment_align: 8
    .kernarg_segment_size: 360
    .language:       OpenCL C
    .language_version:
      - 2
      - 0
    .max_flat_workgroup_size: 1024
    .name:           _Z38modulated_deformable_im2col_gpu_kerneliPKfS0_S0_iiiiiiiiiiiiiiiiPf
    .private_segment_fixed_size: 0
    .sgpr_count:     68
    .sgpr_spill_count: 0
    .symbol:         _Z38modulated_deformable_im2col_gpu_kerneliPKfS0_S0_iiiiiiiiiiiiiiiiPf.kd
    .uniform_work_group_size: 1
    .uses_dynamic_stack: false
    .vgpr_count:     42
    .vgpr_spill_count: 0
    .wavefront_size: 64
  - .agpr_count:     0
    .args:
      - .offset:         0
        .size:           4
        .value_kind:     by_value
      - .address_space:  global
        .offset:         8
        .size:           8
        .value_kind:     global_buffer
      - .address_space:  global
        .offset:         16
        .size:           8
        .value_kind:     global_buffer
      - .address_space:  global
        .offset:         24
        .size:           8
        .value_kind:     global_buffer
      - .offset:         32
        .size:           4
        .value_kind:     by_value
      - .offset:         36
        .size:           4
        .value_kind:     by_value
      - .offset:         40
        .size:           4
        .value_kind:     by_value
      - .offset:         44
        .size:           4
        .value_kind:     by_value
      - .offset:         48
        .size:           4
        .value_kind:     by_value
      - .offset:         52
        .size:           4
        .value_kind:     by_value
      - .offset:         56
        .size:           4
        .value_kind:     by_value
      - .offset:         60
        .size:           4
        .value_kind:     by_value
      - .offset:         64
        .size:           4
        .value_kind:     by_value
      - .offset:         68
        .size:           4
        .value_kind:     by_value
      - .offset:         72
        .size:           4
        .value_kind:     by_value
      - .offset:         76
        .size:           4
        .value_kind:     by_value
      - .offset:         80
        .size:           4
        .value_kind:     by_value
      - .offset:         84
        .size:           4
        .value_kind:     by_value
      - .offset:         88
        .size:           4
        .value_kind:     by_value
      - .offset:         92
        .size:           4
        .value_kind:     by_value
      - .address_space:  global
        .offset:         96
        .size:           8
        .value_kind:     global_buffer
      - .offset:         104
        .size:           4
        .value_kind:     hidden_block_count_x
      - .offset:         108
        .size:           4
        .value_kind:     hidden_block_count_y
      - .offset:         112
        .size:           4
        .value_kind:     hidden_block_count_z
      - .offset:         116
        .size:           2
        .value_kind:     hidden_group_size_x
      - .offset:         118
        .size:           2
        .value_kind:     hidden_group_size_y
      - .offset:         120
        .size:           2
        .value_kind:     hidden_group_size_z
      - .offset:         122
        .size:           2
        .value_kind:     hidden_remainder_x
      - .offset:         124
        .size:           2
        .value_kind:     hidden_remainder_y
      - .offset:         126
        .size:           2
        .value_kind:     hidden_remainder_z
      - .offset:         144
        .size:           8
        .value_kind:     hidden_global_offset_x
      - .offset:         152
        .size:           8
        .value_kind:     hidden_global_offset_y
      - .offset:         160
        .size:           8
        .value_kind:     hidden_global_offset_z
      - .offset:         168
        .size:           2
        .value_kind:     hidden_grid_dims
    .group_segment_fixed_size: 0
    .kernarg_segment_align: 8
    .kernarg_segment_size: 360
    .language:       OpenCL C
    .language_version:
      - 2
      - 0
    .max_flat_workgroup_size: 1024
    .name:           _Z38modulated_deformable_col2im_gpu_kerneliPKfS0_S0_iiiiiiiiiiiiiiiiPf
    .private_segment_fixed_size: 0
    .sgpr_count:     76
    .sgpr_spill_count: 0
    .symbol:         _Z38modulated_deformable_col2im_gpu_kerneliPKfS0_S0_iiiiiiiiiiiiiiiiPf.kd
    .uniform_work_group_size: 1
    .uses_dynamic_stack: false
    .vgpr_count:     35
    .vgpr_spill_count: 0
    .wavefront_size: 64
  - .agpr_count:     0
    .args:
      - .offset:         0
        .size:           4
        .value_kind:     by_value
      - .address_space:  global
        .offset:         8
        .size:           8
        .value_kind:     global_buffer
      - .address_space:  global
        .offset:         16
        .size:           8
        .value_kind:     global_buffer
      - .address_space:  global
        .offset:         24
        .size:           8
        .value_kind:     global_buffer
      - .address_space:  global
        .offset:         32
        .size:           8
        .value_kind:     global_buffer
      - .offset:         40
        .size:           4
        .value_kind:     by_value
      - .offset:         44
        .size:           4
        .value_kind:     by_value
      - .offset:         48
        .size:           4
        .value_kind:     by_value
      - .offset:         52
        .size:           4
        .value_kind:     by_value
      - .offset:         56
        .size:           4
        .value_kind:     by_value
      - .offset:         60
        .size:           4
        .value_kind:     by_value
      - .offset:         64
        .size:           4
        .value_kind:     by_value
      - .offset:         68
        .size:           4
        .value_kind:     by_value
      - .offset:         72
        .size:           4
        .value_kind:     by_value
      - .offset:         76
        .size:           4
        .value_kind:     by_value
      - .offset:         80
        .size:           4
        .value_kind:     by_value
      - .offset:         84
        .size:           4
        .value_kind:     by_value
      - .offset:         88
        .size:           4
        .value_kind:     by_value
      - .offset:         92
        .size:           4
        .value_kind:     by_value
      - .offset:         96
        .size:           4
        .value_kind:     by_value
      - .offset:         100
        .size:           4
        .value_kind:     by_value
      - .offset:         104
        .size:           4
        .value_kind:     by_value
      - .address_space:  global
        .offset:         112
        .size:           8
        .value_kind:     global_buffer
      - .address_space:  global
        .offset:         120
        .size:           8
        .value_kind:     global_buffer
      - .offset:         128
        .size:           4
        .value_kind:     hidden_block_count_x
      - .offset:         132
        .size:           4
        .value_kind:     hidden_block_count_y
      - .offset:         136
        .size:           4
        .value_kind:     hidden_block_count_z
      - .offset:         140
        .size:           2
        .value_kind:     hidden_group_size_x
      - .offset:         142
        .size:           2
        .value_kind:     hidden_group_size_y
      - .offset:         144
        .size:           2
        .value_kind:     hidden_group_size_z
      - .offset:         146
        .size:           2
        .value_kind:     hidden_remainder_x
      - .offset:         148
        .size:           2
        .value_kind:     hidden_remainder_y
      - .offset:         150
        .size:           2
        .value_kind:     hidden_remainder_z
      - .offset:         168
        .size:           8
        .value_kind:     hidden_global_offset_x
      - .offset:         176
        .size:           8
        .value_kind:     hidden_global_offset_y
      - .offset:         184
        .size:           8
        .value_kind:     hidden_global_offset_z
      - .offset:         192
        .size:           2
        .value_kind:     hidden_grid_dims
    .group_segment_fixed_size: 0
    .kernarg_segment_align: 8
    .kernarg_segment_size: 384
    .language:       OpenCL C
    .language_version:
      - 2
      - 0
    .max_flat_workgroup_size: 1024
    .name:           _Z44modulated_deformable_col2im_coord_gpu_kerneliPKfS0_S0_S0_iiiiiiiiiiiiiiiiiPfS1_
    .private_segment_fixed_size: 0
    .sgpr_count:     82
    .sgpr_spill_count: 0
    .symbol:         _Z44modulated_deformable_col2im_coord_gpu_kerneliPKfS0_S0_S0_iiiiiiiiiiiiiiiiiPfS1_.kd
    .uniform_work_group_size: 1
    .uses_dynamic_stack: false
    .vgpr_count:     46
    .vgpr_spill_count: 0
    .wavefront_size: 64
amdhsa.target:   amdgcn-amd-amdhsa--gfx90a
amdhsa.version:
  - 1
  - 2
...

	.end_amdgpu_metadata
